;; amdgpu-corpus repo=ROCm/rocFFT kind=compiled arch=gfx906 opt=O3
	.text
	.amdgcn_target "amdgcn-amd-amdhsa--gfx906"
	.amdhsa_code_object_version 6
	.protected	bluestein_single_fwd_len561_dim1_dp_op_CI_CI ; -- Begin function bluestein_single_fwd_len561_dim1_dp_op_CI_CI
	.globl	bluestein_single_fwd_len561_dim1_dp_op_CI_CI
	.p2align	8
	.type	bluestein_single_fwd_len561_dim1_dp_op_CI_CI,@function
bluestein_single_fwd_len561_dim1_dp_op_CI_CI: ; @bluestein_single_fwd_len561_dim1_dp_op_CI_CI
; %bb.0:
	s_mov_b64 s[66:67], s[2:3]
	v_mul_u32_u24_e32 v1, 0x506, v0
	s_mov_b64 s[64:65], s[0:1]
	s_load_dwordx4 s[0:3], s[4:5], 0x28
	v_lshrrev_b32_e32 v1, 16, v1
	s_add_u32 s64, s64, s7
	v_mad_u64_u32 v[3:4], s[6:7], s6, 5, v[1:2]
	v_mov_b32_e32 v4, 0
	s_addc_u32 s65, s65, 0
	s_waitcnt lgkmcnt(0)
	v_cmp_gt_u64_e32 vcc, s[0:1], v[3:4]
	s_and_saveexec_b64 s[0:1], vcc
	s_cbranch_execz .LBB0_23
; %bb.1:
	s_mov_b32 s0, 0xcccccccd
	v_mul_hi_u32 v2, v3, s0
	v_mul_lo_u16_e32 v1, 51, v1
	s_load_dwordx2 s[12:13], s[4:5], 0x0
	s_load_dwordx2 s[14:15], s[4:5], 0x38
	v_sub_u16_e32 v162, v0, v1
	v_lshrrev_b32_e32 v0, 2, v2
	v_lshl_add_u32 v0, v0, 2, v0
	v_sub_u32_e32 v0, v3, v0
	v_mul_u32_u24_e32 v176, 0x231, v0
	v_mov_b32_e32 v1, v3
	v_cmp_gt_u16_e64 s[0:1], 33, v162
	v_lshlrev_b32_e32 v0, 4, v176
	buffer_store_dword v1, off, s[64:67], 0 offset:84 ; 4-byte Folded Spill
	s_nop 0
	buffer_store_dword v2, off, s[64:67], 0 offset:88 ; 4-byte Folded Spill
	buffer_store_dword v0, off, s[64:67], 0 offset:80 ; 4-byte Folded Spill
	s_and_saveexec_b64 s[6:7], s[0:1]
	s_cbranch_execz .LBB0_3
; %bb.2:
	s_load_dwordx2 s[8:9], s[4:5], 0x18
	v_lshlrev_b32_e32 v141, 4, v162
	s_waitcnt lgkmcnt(0)
	v_mov_b32_e32 v18, s13
	s_load_dwordx4 s[8:11], s[8:9], 0x0
	buffer_load_dword v0, off, s[64:67], 0 offset:84 ; 4-byte Folded Reload
	buffer_load_dword v1, off, s[64:67], 0 offset:88 ; 4-byte Folded Reload
	s_waitcnt lgkmcnt(0)
	v_mad_u64_u32 v[2:3], s[16:17], s8, v162, 0
	s_waitcnt vmcnt(1)
	v_mov_b32_e32 v4, v0
	s_waitcnt vmcnt(0)
	v_mad_u64_u32 v[0:1], s[16:17], s10, v4, 0
	v_mad_u64_u32 v[4:5], s[10:11], s11, v4, v[1:2]
	;; [unrolled: 1-line block ×3, first 2 shown]
	v_mov_b32_e32 v1, v4
	v_lshlrev_b64 v[0:1], 4, v[0:1]
	v_mov_b32_e32 v3, v5
	v_mov_b32_e32 v6, s3
	v_lshlrev_b64 v[2:3], 4, v[2:3]
	v_add_co_u32_e32 v0, vcc, s2, v0
	v_addc_co_u32_e32 v1, vcc, v6, v1, vcc
	v_add_co_u32_e32 v16, vcc, v0, v2
	v_addc_co_u32_e32 v17, vcc, v1, v3, vcc
	global_load_dwordx4 v[0:3], v141, s[12:13]
	global_load_dwordx4 v[4:7], v[16:17], off
	v_add_co_u32_e32 v39, vcc, s12, v141
	s_movk_i32 s2, 0x1000
	s_movk_i32 s3, 0x2000
	v_addc_co_u32_e32 v18, vcc, 0, v18, vcc
	v_add_co_u32_e32 v131, vcc, s2, v39
	v_add_co_u32_e64 v39, s[2:3], s3, v39
	v_addc_co_u32_e32 v132, vcc, 0, v18, vcc
	v_addc_co_u32_e64 v40, vcc, 0, v18, s[2:3]
	s_mul_i32 s2, s9, 0x210
	s_mul_hi_u32 s3, s8, 0x210
	s_mulk_i32 s8, 0x210
	s_add_i32 s2, s3, s2
	v_mov_b32_e32 v18, s2
	v_add_co_u32_e32 v16, vcc, s8, v16
	v_addc_co_u32_e32 v17, vcc, v17, v18, vcc
	v_mov_b32_e32 v48, s2
	v_add_co_u32_e32 v47, vcc, s8, v16
	v_addc_co_u32_e32 v48, vcc, v17, v48, vcc
	global_load_dwordx4 v[8:11], v141, s[12:13] offset:528
	global_load_dwordx4 v[12:15], v141, s[12:13] offset:1056
	;; [unrolled: 1-line block ×7, first 2 shown]
	v_mov_b32_e32 v49, s2
	global_load_dwordx4 v[43:46], v[16:17], off
	v_add_co_u32_e32 v16, vcc, s8, v47
	v_addc_co_u32_e32 v17, vcc, v48, v49, vcc
	v_mov_b32_e32 v55, s2
	v_add_co_u32_e32 v58, vcc, s8, v16
	v_addc_co_u32_e32 v59, vcc, v17, v55, vcc
	global_load_dwordx4 v[47:50], v[47:48], off
	v_mov_b32_e32 v60, s2
	global_load_dwordx4 v[51:54], v[16:17], off
	v_add_co_u32_e32 v16, vcc, s8, v58
	global_load_dwordx4 v[55:58], v[58:59], off
	v_addc_co_u32_e32 v17, vcc, v59, v60, vcc
	v_mov_b32_e32 v63, s2
	v_add_co_u32_e32 v66, vcc, s8, v16
	v_addc_co_u32_e32 v67, vcc, v17, v63, vcc
	v_mov_b32_e32 v68, s2
	global_load_dwordx4 v[59:62], v[16:17], off
	v_add_co_u32_e32 v16, vcc, s8, v66
	v_addc_co_u32_e32 v17, vcc, v67, v68, vcc
	v_mov_b32_e32 v71, s2
	v_add_co_u32_e32 v74, vcc, s8, v16
	global_load_dwordx4 v[63:66], v[66:67], off
	v_addc_co_u32_e32 v75, vcc, v17, v71, vcc
	v_mov_b32_e32 v76, s2
	global_load_dwordx4 v[67:70], v[16:17], off
	v_add_co_u32_e32 v16, vcc, s8, v74
	global_load_dwordx4 v[71:74], v[74:75], off
	v_addc_co_u32_e32 v17, vcc, v75, v76, vcc
	global_load_dwordx4 v[39:42], v[39:40], off offset:256
	s_nop 0
	global_load_dwordx4 v[75:78], v[16:17], off
	global_load_dwordx4 v[79:82], v[131:132], off offset:128
	global_load_dwordx4 v[83:86], v[131:132], off offset:656
	v_add_co_u32_e32 v16, vcc, s8, v16
	v_addc_co_u32_e32 v17, vcc, v17, v18, vcc
	global_load_dwordx4 v[87:90], v[16:17], off
	v_add_co_u32_e32 v16, vcc, s8, v16
	v_addc_co_u32_e32 v17, vcc, v17, v18, vcc
	global_load_dwordx4 v[91:94], v[16:17], off
	global_load_dwordx4 v[95:98], v[131:132], off offset:1184
	global_load_dwordx4 v[99:102], v[131:132], off offset:1712
	v_add_co_u32_e32 v16, vcc, s8, v16
	v_addc_co_u32_e32 v17, vcc, v17, v18, vcc
	global_load_dwordx4 v[103:106], v[16:17], off
	v_add_co_u32_e32 v16, vcc, s8, v16
	v_addc_co_u32_e32 v17, vcc, v17, v18, vcc
	;; [unrolled: 8-line block ×3, first 2 shown]
	global_load_dwordx4 v[123:126], v[16:17], off
	global_load_dwordx4 v[127:130], v[131:132], off offset:3296
	s_nop 0
	global_load_dwordx4 v[131:134], v[131:132], off offset:3824
	v_add_co_u32_e32 v16, vcc, s8, v16
	v_addc_co_u32_e32 v17, vcc, v17, v18, vcc
	global_load_dwordx4 v[135:138], v[16:17], off
	s_waitcnt vmcnt(32)
	v_mul_f64 v[139:140], v[6:7], v[2:3]
	v_mul_f64 v[16:17], v[4:5], v[2:3]
	v_lshlrev_b32_e32 v18, 4, v176
	v_fma_f64 v[2:3], v[4:5], v[0:1], v[139:140]
	v_fma_f64 v[4:5], v[6:7], v[0:1], -v[16:17]
	v_lshl_add_u32 v6, v162, 4, v18
	s_waitcnt vmcnt(24)
	v_mul_f64 v[0:1], v[45:46], v[10:11]
	v_add_u32_e32 v18, v18, v141
	s_waitcnt vmcnt(21)
	v_mul_f64 v[16:17], v[57:58], v[25:26]
	ds_write_b128 v6, v[2:5]
	v_mul_f64 v[2:3], v[43:44], v[10:11]
	v_mul_f64 v[4:5], v[49:50], v[14:15]
	v_mul_f64 v[6:7], v[47:48], v[14:15]
	v_mul_f64 v[10:11], v[53:54], v[21:22]
	v_mul_f64 v[14:15], v[51:52], v[21:22]
	v_mul_f64 v[21:22], v[55:56], v[25:26]
	v_fma_f64 v[0:1], v[43:44], v[8:9], v[0:1]
	v_fma_f64 v[2:3], v[45:46], v[8:9], -v[2:3]
	v_fma_f64 v[4:5], v[47:48], v[12:13], v[4:5]
	v_fma_f64 v[6:7], v[49:50], v[12:13], -v[6:7]
	;; [unrolled: 2-line block ×4, first 2 shown]
	s_waitcnt vmcnt(20)
	v_mul_f64 v[16:17], v[61:62], v[29:30]
	v_mul_f64 v[21:22], v[59:60], v[29:30]
	s_waitcnt vmcnt(19)
	v_mul_f64 v[23:24], v[65:66], v[33:34]
	v_mul_f64 v[25:26], v[63:64], v[33:34]
	;; [unrolled: 3-line block ×3, first 2 shown]
	v_fma_f64 v[19:20], v[59:60], v[27:28], v[16:17]
	v_fma_f64 v[21:22], v[61:62], v[27:28], -v[21:22]
	s_waitcnt vmcnt(14)
	v_mul_f64 v[37:38], v[73:74], v[81:82]
	v_mul_f64 v[43:44], v[71:72], v[81:82]
	v_fma_f64 v[23:24], v[63:64], v[31:32], v[23:24]
	v_fma_f64 v[25:26], v[65:66], v[31:32], -v[25:26]
	v_fma_f64 v[27:28], v[67:68], v[35:36], v[29:30]
	v_fma_f64 v[29:30], v[69:70], v[35:36], -v[33:34]
	;; [unrolled: 2-line block ×3, first 2 shown]
	ds_write_b128 v18, v[0:3] offset:528
	ds_write_b128 v18, v[4:7] offset:1056
	;; [unrolled: 1-line block ×8, first 2 shown]
	s_waitcnt vmcnt(13)
	v_mul_f64 v[0:1], v[77:78], v[85:86]
	v_mul_f64 v[2:3], v[75:76], v[85:86]
	s_waitcnt vmcnt(10)
	v_mul_f64 v[4:5], v[89:90], v[97:98]
	v_mul_f64 v[6:7], v[87:88], v[97:98]
	;; [unrolled: 3-line block ×3, first 2 shown]
	v_fma_f64 v[0:1], v[75:76], v[83:84], v[0:1]
	s_waitcnt vmcnt(6)
	v_mul_f64 v[12:13], v[105:106], v[113:114]
	v_mul_f64 v[14:15], v[103:104], v[113:114]
	s_waitcnt vmcnt(5)
	v_mul_f64 v[16:17], v[109:110], v[117:118]
	v_mul_f64 v[21:22], v[107:108], v[117:118]
	v_fma_f64 v[2:3], v[77:78], v[83:84], -v[2:3]
	v_fma_f64 v[4:5], v[87:88], v[95:96], v[4:5]
	v_fma_f64 v[6:7], v[89:90], v[95:96], -v[6:7]
	v_fma_f64 v[8:9], v[91:92], v[99:100], v[8:9]
	;; [unrolled: 2-line block ×3, first 2 shown]
	s_waitcnt vmcnt(2)
	v_mul_f64 v[23:24], v[121:122], v[129:130]
	v_mul_f64 v[25:26], v[119:120], v[129:130]
	s_waitcnt vmcnt(1)
	v_mul_f64 v[27:28], v[125:126], v[133:134]
	v_mul_f64 v[29:30], v[123:124], v[133:134]
	v_fma_f64 v[14:15], v[105:106], v[111:112], -v[14:15]
	v_fma_f64 v[19:20], v[107:108], v[115:116], v[16:17]
	s_waitcnt vmcnt(0)
	v_mul_f64 v[31:32], v[137:138], v[41:42]
	v_mul_f64 v[33:34], v[135:136], v[41:42]
	v_fma_f64 v[21:22], v[109:110], v[115:116], -v[21:22]
	v_fma_f64 v[23:24], v[119:120], v[127:128], v[23:24]
	v_fma_f64 v[25:26], v[121:122], v[127:128], -v[25:26]
	v_fma_f64 v[27:28], v[123:124], v[131:132], v[27:28]
	v_fma_f64 v[29:30], v[125:126], v[131:132], -v[29:30]
	v_fma_f64 v[31:32], v[135:136], v[39:40], v[31:32]
	v_fma_f64 v[33:34], v[137:138], v[39:40], -v[33:34]
	ds_write_b128 v18, v[0:3] offset:4752
	ds_write_b128 v18, v[4:7] offset:5280
	;; [unrolled: 1-line block ×8, first 2 shown]
.LBB0_3:
	s_or_b64 exec, exec, s[6:7]
	s_waitcnt vmcnt(0) lgkmcnt(0)
	s_barrier
	s_waitcnt lgkmcnt(0)
                                        ; implicit-def: $vgpr20_vgpr21
                                        ; implicit-def: $vgpr72_vgpr73
                                        ; implicit-def: $vgpr80_vgpr81
                                        ; implicit-def: $vgpr84_vgpr85
                                        ; implicit-def: $vgpr88_vgpr89
                                        ; implicit-def: $vgpr68_vgpr69
                                        ; implicit-def: $vgpr32_vgpr33
                                        ; implicit-def: $vgpr24_vgpr25
                                        ; implicit-def: $vgpr28_vgpr29
                                        ; implicit-def: $vgpr36_vgpr37
                                        ; implicit-def: $vgpr40_vgpr41
                                        ; implicit-def: $vgpr44_vgpr45
                                        ; implicit-def: $vgpr48_vgpr49
                                        ; implicit-def: $vgpr52_vgpr53
                                        ; implicit-def: $vgpr56_vgpr57
                                        ; implicit-def: $vgpr60_vgpr61
                                        ; implicit-def: $vgpr64_vgpr65
	s_and_saveexec_b64 s[2:3], s[0:1]
	s_cbranch_execz .LBB0_5
; %bb.4:
	v_lshlrev_b32_e32 v0, 4, v162
	v_lshl_add_u32 v0, v176, 4, v0
	ds_read_b128 v[20:23], v0
	ds_read_b128 v[72:75], v0 offset:528
	ds_read_b128 v[80:83], v0 offset:1056
	;; [unrolled: 1-line block ×16, first 2 shown]
.LBB0_5:
	s_or_b64 exec, exec, s[2:3]
	s_waitcnt lgkmcnt(0)
	v_add_f64 v[78:79], v[74:75], -v[66:67]
	v_add_f64 v[76:77], v[72:73], -v[64:65]
	s_mov_b32 s8, 0x5d8e7cdc
	s_mov_b32 s30, 0x2a9d6da3
	s_mov_b32 s9, 0xbfd71e95
	s_mov_b32 s31, 0xbfe58eea
	v_add_f64 v[189:190], v[82:83], -v[62:63]
	v_add_f64 v[177:178], v[80:81], -v[60:61]
	v_mul_f64 v[0:1], v[78:79], s[8:9]
	v_mul_f64 v[2:3], v[76:77], s[8:9]
	;; [unrolled: 1-line block ×3, first 2 shown]
	s_mov_b32 s38, 0x7c9e640b
	s_mov_b32 s34, 0xeb564b22
	;; [unrolled: 1-line block ×4, first 2 shown]
	v_mul_f64 v[6:7], v[76:77], s[30:31]
	buffer_store_dword v0, off, s[64:67], 0 offset:100 ; 4-byte Folded Spill
	s_nop 0
	buffer_store_dword v1, off, s[64:67], 0 offset:104 ; 4-byte Folded Spill
	buffer_store_dword v2, off, s[64:67], 0 offset:108 ; 4-byte Folded Spill
	s_nop 0
	buffer_store_dword v3, off, s[64:67], 0 offset:112 ; 4-byte Folded Spill
	v_mul_f64 v[8:9], v[78:79], s[38:39]
	v_mul_f64 v[10:11], v[76:77], s[38:39]
	buffer_store_dword v4, off, s[64:67], 0 offset:124 ; 4-byte Folded Spill
	s_nop 0
	buffer_store_dword v5, off, s[64:67], 0 offset:128 ; 4-byte Folded Spill
	v_mul_f64 v[12:13], v[189:190], s[30:31]
	v_mul_f64 v[14:15], v[177:178], s[30:31]
	;; [unrolled: 1-line block ×3, first 2 shown]
	buffer_store_dword v6, off, s[64:67], 0 offset:172 ; 4-byte Folded Spill
	s_nop 0
	buffer_store_dword v7, off, s[64:67], 0 offset:176 ; 4-byte Folded Spill
	buffer_store_dword v8, off, s[64:67], 0 offset:204 ; 4-byte Folded Spill
	s_nop 0
	buffer_store_dword v9, off, s[64:67], 0 offset:208 ; 4-byte Folded Spill
	;; [unrolled: 3-line block ×3, first 2 shown]
	v_mul_f64 v[18:19], v[177:178], s[34:35]
	buffer_store_dword v12, off, s[64:67], 0 offset:140 ; 4-byte Folded Spill
	s_nop 0
	buffer_store_dword v13, off, s[64:67], 0 offset:144 ; 4-byte Folded Spill
	buffer_store_dword v14, off, s[64:67], 0 offset:156 ; 4-byte Folded Spill
	s_nop 0
	buffer_store_dword v15, off, s[64:67], 0 offset:160 ; 4-byte Folded Spill
	;; [unrolled: 3-line block ×4, first 2 shown]
	v_add_f64 v[114:115], v[72:73], v[64:65]
	v_add_f64 v[116:117], v[74:75], v[66:67]
	s_mov_b32 s2, 0x370991
	s_mov_b32 s22, 0x75d4884
	;; [unrolled: 1-line block ×4, first 2 shown]
	v_add_f64 v[138:139], v[80:81], v[60:61]
	v_add_f64 v[142:143], v[82:83], v[62:63]
	s_mov_b32 s10, 0x3259b75e
	s_mov_b32 s28, 0x6c9a05f6
	;; [unrolled: 1-line block ×4, first 2 shown]
	v_mul_f64 v[94:95], v[189:190], s[28:29]
	v_mul_f64 v[96:97], v[177:178], s[28:29]
	v_add_f64 v[213:214], v[86:87], -v[58:59]
	v_add_f64 v[209:210], v[84:85], -v[56:57]
	buffer_store_dword v94, off, s[64:67], 0 offset:308 ; 4-byte Folded Spill
	s_nop 0
	buffer_store_dword v95, off, s[64:67], 0 offset:312 ; 4-byte Folded Spill
	buffer_store_dword v96, off, s[64:67], 0 offset:364 ; 4-byte Folded Spill
	s_nop 0
	buffer_store_dword v97, off, s[64:67], 0 offset:368 ; 4-byte Folded Spill
	s_mov_b32 s6, 0x2b2883cd
	s_mov_b32 s7, 0x3fdc86fa
	;; [unrolled: 1-line block ×4, first 2 shown]
	v_add_f64 v[158:159], v[86:87], v[58:59]
	v_add_f64 v[245:246], v[90:91], -v[54:55]
	s_mov_b32 s40, 0xacd6c6b4
	s_mov_b32 s41, 0xbfc7851a
	;; [unrolled: 1-line block ×4, first 2 shown]
	v_add_f64 v[243:244], v[88:89], -v[52:53]
	v_add_f64 v[152:153], v[84:85], v[56:57]
	v_add_f64 v[168:169], v[88:89], v[52:53]
	;; [unrolled: 1-line block ×3, first 2 shown]
	s_mov_b32 s24, 0x7faef3
	s_mov_b32 s25, 0xbfef7484
	;; [unrolled: 1-line block ×4, first 2 shown]
	v_mul_f64 v[98:99], v[243:244], s[34:35]
	s_mov_b32 s47, 0x3feec746
	s_mov_b32 s46, s26
	;; [unrolled: 1-line block ×4, first 2 shown]
	v_add_f64 v[183:184], v[68:69], v[48:49]
	v_add_f64 v[185:186], v[70:71], v[50:51]
	v_add_f64 v[102:103], v[34:35], -v[46:47]
	s_mov_b32 s36, 0x4363dd80
	s_mov_b32 s37, 0xbfe0d888
	;; [unrolled: 1-line block ×4, first 2 shown]
	v_add_f64 v[104:105], v[32:33], -v[44:45]
	v_add_f64 v[197:198], v[32:33], v[44:45]
	s_mov_b32 s20, 0x910ea3b9
	s_mov_b32 s21, 0xbfeb34fa
	v_add_f64 v[199:200], v[34:35], v[46:47]
	v_add_f64 v[205:206], v[24:25], v[40:41]
	v_fma_f64 v[0:1], v[114:115], s[2:3], v[0:1]
	v_fma_f64 v[2:3], v[116:117], s[2:3], -v[2:3]
	v_mul_f64 v[106:107], v[104:105], s[28:29]
	v_add_f64 v[207:208], v[26:27], v[42:43]
	v_fma_f64 v[4:5], v[114:115], s[22:23], v[4:5]
	v_add_f64 v[253:254], v[30:31], -v[38:39]
	s_mov_b32 s43, 0x3feca52d
	s_mov_b32 s42, s38
	v_add_f64 v[0:1], v[20:21], v[0:1]
	v_add_f64 v[2:3], v[22:23], v[2:3]
	v_fma_f64 v[6:7], v[116:117], s[22:23], -v[6:7]
	v_fma_f64 v[8:9], v[114:115], s[6:7], v[8:9]
	v_add_f64 v[4:5], v[20:21], v[4:5]
	v_fma_f64 v[12:13], v[138:139], s[22:23], v[12:13]
	v_fma_f64 v[14:15], v[142:143], s[22:23], -v[14:15]
	v_fma_f64 v[16:17], v[138:139], s[10:11], v[16:17]
	v_fma_f64 v[10:11], v[116:117], s[6:7], -v[10:11]
	v_add_f64 v[221:222], v[28:29], v[36:37]
	v_add_f64 v[6:7], v[22:23], v[6:7]
	;; [unrolled: 1-line block ×3, first 2 shown]
	v_fma_f64 v[92:93], v[142:143], s[10:11], -v[18:19]
	v_add_f64 v[0:1], v[12:13], v[0:1]
	v_add_f64 v[2:3], v[14:15], v[2:3]
	;; [unrolled: 1-line block ×3, first 2 shown]
	v_mul_f64 v[12:13], v[213:214], s[38:39]
	v_mul_f64 v[14:15], v[209:210], s[38:39]
	;; [unrolled: 1-line block ×4, first 2 shown]
	buffer_store_dword v12, off, s[64:67], 0 offset:220 ; 4-byte Folded Spill
	s_nop 0
	buffer_store_dword v13, off, s[64:67], 0 offset:224 ; 4-byte Folded Spill
	buffer_store_dword v14, off, s[64:67], 0 offset:228 ; 4-byte Folded Spill
	s_nop 0
	buffer_store_dword v15, off, s[64:67], 0 offset:232 ; 4-byte Folded Spill
	;; [unrolled: 3-line block ×4, first 2 shown]
	v_add_f64 v[10:11], v[22:23], v[10:11]
	v_add_f64 v[6:7], v[92:93], v[6:7]
	;; [unrolled: 1-line block ×3, first 2 shown]
	s_mov_b32 s45, 0x3fd71e95
	s_mov_b32 s44, s8
	v_fma_f64 v[94:95], v[138:139], s[18:19], v[94:95]
	v_fma_f64 v[96:97], v[142:143], s[18:19], -v[96:97]
	v_mul_f64 v[108:109], v[78:79], s[34:35]
	s_mov_b32 s53, 0x3fe9895b
	s_mov_b32 s52, s28
	v_mul_f64 v[126:127], v[76:77], s[26:27]
	v_mul_f64 v[128:129], v[177:178], s[50:51]
	;; [unrolled: 1-line block ×3, first 2 shown]
	v_add_f64 v[8:9], v[94:95], v[8:9]
	v_add_f64 v[10:11], v[96:97], v[10:11]
	v_mul_f64 v[94:95], v[213:214], s[48:49]
	v_mul_f64 v[96:97], v[209:210], s[48:49]
	buffer_store_dword v94, off, s[64:67], 0 offset:356 ; 4-byte Folded Spill
	s_nop 0
	buffer_store_dword v95, off, s[64:67], 0 offset:360 ; 4-byte Folded Spill
	buffer_store_dword v96, off, s[64:67], 0 offset:412 ; 4-byte Folded Spill
	s_nop 0
	buffer_store_dword v97, off, s[64:67], 0 offset:416 ; 4-byte Folded Spill
	s_mov_b32 s49, 0x3fe58eea
	s_mov_b32 s48, s30
	v_mul_f64 v[132:133], v[209:210], s[48:49]
	v_mul_f64 v[124:125], v[253:254], s[28:29]
	;; [unrolled: 1-line block ×27, first 2 shown]
	v_fma_f64 v[12:13], v[152:153], s[6:7], v[12:13]
	v_fma_f64 v[14:15], v[158:159], s[6:7], -v[14:15]
	v_fma_f64 v[16:17], v[152:153], s[18:19], v[16:17]
	v_fma_f64 v[92:93], v[158:159], s[18:19], -v[18:19]
	v_mul_f64 v[18:19], v[245:246], s[34:35]
	buffer_store_dword v18, off, s[64:67], 0 offset:292 ; 4-byte Folded Spill
	s_nop 0
	buffer_store_dword v19, off, s[64:67], 0 offset:296 ; 4-byte Folded Spill
	buffer_store_dword v98, off, s[64:67], 0 offset:300 ; 4-byte Folded Spill
	s_nop 0
	buffer_store_dword v99, off, s[64:67], 0 offset:304 ; 4-byte Folded Spill
	v_add_f64 v[0:1], v[12:13], v[0:1]
	v_add_f64 v[4:5], v[16:17], v[4:5]
	v_mul_f64 v[16:17], v[245:246], s[40:41]
	buffer_store_dword v16, off, s[64:67], 0 offset:316 ; 4-byte Folded Spill
	s_nop 0
	buffer_store_dword v17, off, s[64:67], 0 offset:320 ; 4-byte Folded Spill
	v_add_f64 v[2:3], v[14:15], v[2:3]
	v_add_f64 v[6:7], v[92:93], v[6:7]
	v_fma_f64 v[94:95], v[152:153], s[24:25], v[94:95]
	v_fma_f64 v[96:97], v[158:159], s[24:25], -v[96:97]
	v_add_f64 v[8:9], v[94:95], v[8:9]
	v_add_f64 v[10:11], v[96:97], v[10:11]
	v_mul_f64 v[94:95], v[245:246], s[46:47]
	v_mul_f64 v[96:97], v[243:244], s[46:47]
	v_fma_f64 v[12:13], v[168:169], s[10:11], v[18:19]
	v_mul_f64 v[18:19], v[243:244], s[40:41]
	buffer_store_dword v18, off, s[64:67], 0 offset:372 ; 4-byte Folded Spill
	s_nop 0
	buffer_store_dword v19, off, s[64:67], 0 offset:376 ; 4-byte Folded Spill
	v_fma_f64 v[14:15], v[170:171], s[10:11], -v[98:99]
	v_add_f64 v[0:1], v[12:13], v[0:1]
	v_add_f64 v[12:13], v[70:71], -v[50:51]
	buffer_store_dword v94, off, s[64:67], 0 offset:420 ; 4-byte Folded Spill
	s_nop 0
	buffer_store_dword v95, off, s[64:67], 0 offset:424 ; 4-byte Folded Spill
	buffer_store_dword v96, off, s[64:67], 0 offset:460 ; 4-byte Folded Spill
	s_nop 0
	buffer_store_dword v97, off, s[64:67], 0 offset:464 ; 4-byte Folded Spill
	v_fma_f64 v[16:17], v[168:169], s[24:25], v[16:17]
	v_add_f64 v[2:3], v[14:15], v[2:3]
	v_add_f64 v[14:15], v[68:69], -v[48:49]
	v_mul_f64 v[215:216], v[12:13], s[8:9]
	v_add_f64 v[4:5], v[16:17], v[4:5]
	v_mul_f64 v[98:99], v[14:15], s[26:27]
	v_mul_f64 v[100:101], v[14:15], s[48:49]
	;; [unrolled: 1-line block ×4, first 2 shown]
	v_fma_f64 v[92:93], v[170:171], s[24:25], -v[18:19]
	v_mul_f64 v[18:19], v[12:13], s[26:27]
	buffer_store_dword v18, off, s[64:67], 0 offset:332 ; 4-byte Folded Spill
	s_nop 0
	buffer_store_dword v19, off, s[64:67], 0 offset:336 ; 4-byte Folded Spill
	buffer_store_dword v98, off, s[64:67], 0 offset:340 ; 4-byte Folded Spill
	s_nop 0
	buffer_store_dword v99, off, s[64:67], 0 offset:344 ; 4-byte Folded Spill
	v_fma_f64 v[94:95], v[168:169], s[16:17], v[94:95]
	v_fma_f64 v[96:97], v[170:171], s[16:17], -v[96:97]
	v_add_f64 v[6:7], v[92:93], v[6:7]
	v_add_f64 v[8:9], v[94:95], v[8:9]
	;; [unrolled: 1-line block ×3, first 2 shown]
	v_mul_f64 v[94:95], v[12:13], s[50:51]
	v_mul_f64 v[96:97], v[14:15], s[50:51]
	buffer_store_dword v94, off, s[64:67], 0 offset:348 ; 4-byte Folded Spill
	s_nop 0
	buffer_store_dword v95, off, s[64:67], 0 offset:352 ; 4-byte Folded Spill
	buffer_store_dword v96, off, s[64:67], 0 offset:404 ; 4-byte Folded Spill
	s_nop 0
	buffer_store_dword v97, off, s[64:67], 0 offset:408 ; 4-byte Folded Spill
	v_fma_f64 v[16:17], v[183:184], s[16:17], v[18:19]
	v_fma_f64 v[92:93], v[185:186], s[16:17], -v[98:99]
	v_mul_f64 v[98:99], v[12:13], s[48:49]
	v_mul_f64 v[18:19], v[102:103], s[28:29]
	buffer_store_dword v98, off, s[64:67], 0 offset:500 ; 4-byte Folded Spill
	s_nop 0
	buffer_store_dword v99, off, s[64:67], 0 offset:504 ; 4-byte Folded Spill
	buffer_store_dword v100, off, s[64:67], 0 offset:540 ; 4-byte Folded Spill
	s_nop 0
	buffer_store_dword v101, off, s[64:67], 0 offset:544 ; 4-byte Folded Spill
	;; [unrolled: 3-line block ×4, first 2 shown]
	v_add_f64 v[0:1], v[16:17], v[0:1]
	v_add_f64 v[2:3], v[92:93], v[2:3]
	v_fma_f64 v[94:95], v[183:184], s[20:21], v[94:95]
	v_fma_f64 v[96:97], v[185:186], s[20:21], -v[96:97]
	v_add_f64 v[4:5], v[94:95], v[4:5]
	v_add_f64 v[6:7], v[96:97], v[6:7]
	v_mul_f64 v[94:95], v[104:105], s[46:47]
	v_mul_f64 v[96:97], v[102:103], s[8:9]
	v_fma_f64 v[98:99], v[183:184], s[22:23], v[98:99]
	v_fma_f64 v[100:101], v[185:186], s[22:23], -v[100:101]
	v_fma_f64 v[16:17], v[197:198], s[18:19], v[18:19]
	v_fma_f64 v[92:93], v[199:200], s[18:19], -v[106:107]
	v_mul_f64 v[18:19], v[102:103], s[46:47]
	v_add_f64 v[106:107], v[24:25], -v[40:41]
	buffer_store_dword v18, off, s[64:67], 0 offset:396 ; 4-byte Folded Spill
	s_nop 0
	buffer_store_dword v19, off, s[64:67], 0 offset:400 ; 4-byte Folded Spill
	v_add_f64 v[8:9], v[98:99], v[8:9]
	v_mul_f64 v[98:99], v[104:105], s[8:9]
	v_add_f64 v[0:1], v[16:17], v[0:1]
	v_add_f64 v[16:17], v[26:27], -v[42:43]
	v_add_f64 v[10:11], v[100:101], v[10:11]
	buffer_store_dword v94, off, s[64:67], 0 offset:452 ; 4-byte Folded Spill
	s_nop 0
	buffer_store_dword v95, off, s[64:67], 0 offset:456 ; 4-byte Folded Spill
	buffer_store_dword v96, off, s[64:67], 0 offset:444 ; 4-byte Folded Spill
	s_nop 0
	buffer_store_dword v97, off, s[64:67], 0 offset:448 ; 4-byte Folded Spill
	;; [unrolled: 3-line block ×3, first 2 shown]
	v_mul_f64 v[110:111], v[106:107], s[36:37]
	v_mul_f64 v[100:101], v[16:17], s[36:37]
	buffer_store_dword v100, off, s[64:67], 0 offset:428 ; 4-byte Folded Spill
	s_nop 0
	buffer_store_dword v101, off, s[64:67], 0 offset:432 ; 4-byte Folded Spill
	buffer_store_dword v110, off, s[64:67], 0 offset:436 ; 4-byte Folded Spill
	s_nop 0
	buffer_store_dword v111, off, s[64:67], 0 offset:440 ; 4-byte Folded Spill
	v_add_f64 v[2:3], v[92:93], v[2:3]
	v_mul_f64 v[118:119], v[106:107], s[34:35]
	v_mul_f64 v[122:123], v[16:17], s[8:9]
	;; [unrolled: 1-line block ×6, first 2 shown]
	v_fma_f64 v[92:93], v[197:198], s[16:17], v[18:19]
	v_add_f64 v[18:19], v[28:29], -v[36:37]
	v_fma_f64 v[94:95], v[199:200], s[16:17], -v[94:95]
	v_fma_f64 v[96:97], v[197:198], s[2:3], v[96:97]
	v_add_f64 v[4:5], v[92:93], v[4:5]
	v_mul_f64 v[112:113], v[18:19], s[44:45]
	v_fma_f64 v[98:99], v[199:200], s[2:3], -v[98:99]
	v_mul_f64 v[144:145], v[18:19], s[28:29]
	v_mul_f64 v[193:194], v[18:19], s[42:43]
	v_mul_f64 v[241:242], v[18:19], s[26:27]
	v_add_f64 v[6:7], v[94:95], v[6:7]
	v_add_f64 v[8:9], v[96:97], v[8:9]
	v_mul_f64 v[96:97], v[253:254], s[40:41]
	v_add_f64 v[10:11], v[98:99], v[10:11]
	v_mul_f64 v[98:99], v[18:19], s[40:41]
	v_fma_f64 v[92:93], v[205:206], s[20:21], v[100:101]
	v_fma_f64 v[94:95], v[207:208], s[20:21], -v[110:111]
	v_mul_f64 v[100:101], v[16:17], s[42:43]
	v_mul_f64 v[110:111], v[106:107], s[42:43]
	buffer_store_dword v100, off, s[64:67], 0 offset:484 ; 4-byte Folded Spill
	s_nop 0
	buffer_store_dword v101, off, s[64:67], 0 offset:488 ; 4-byte Folded Spill
	buffer_store_dword v110, off, s[64:67], 0 offset:508 ; 4-byte Folded Spill
	s_nop 0
	buffer_store_dword v111, off, s[64:67], 0 offset:512 ; 4-byte Folded Spill
	;; [unrolled: 3-line block ×4, first 2 shown]
	v_add_f64 v[0:1], v[92:93], v[0:1]
	v_add_f64 v[2:3], v[94:95], v[2:3]
	v_fma_f64 v[92:93], v[205:206], s[6:7], v[100:101]
	v_fma_f64 v[94:95], v[207:208], s[6:7], -v[110:111]
	v_fma_f64 v[96:97], v[221:222], s[24:25], v[96:97]
	v_fma_f64 v[98:99], v[223:224], s[24:25], -v[98:99]
	v_mul_f64 v[110:111], v[16:17], s[34:35]
	v_mul_f64 v[100:101], v[253:254], s[44:45]
	buffer_store_dword v110, off, s[64:67], 0 offset:516 ; 4-byte Folded Spill
	s_nop 0
	buffer_store_dword v111, off, s[64:67], 0 offset:520 ; 4-byte Folded Spill
	v_add_f64 v[0:1], v[96:97], v[0:1]
	v_add_f64 v[2:3], v[98:99], v[2:3]
	buffer_store_dword v118, off, s[64:67], 0 offset:564 ; 4-byte Folded Spill
	s_nop 0
	buffer_store_dword v119, off, s[64:67], 0 offset:568 ; 4-byte Folded Spill
	buffer_store_dword v0, off, s[64:67], 0 ; 4-byte Folded Spill
	s_nop 0
	buffer_store_dword v1, off, s[64:67], 0 offset:4 ; 4-byte Folded Spill
	buffer_store_dword v2, off, s[64:67], 0 offset:8 ; 4-byte Folded Spill
	;; [unrolled: 1-line block ×4, first 2 shown]
	s_nop 0
	buffer_store_dword v101, off, s[64:67], 0 offset:496 ; 4-byte Folded Spill
	buffer_store_dword v112, off, s[64:67], 0 offset:524 ; 4-byte Folded Spill
	s_nop 0
	buffer_store_dword v113, off, s[64:67], 0 offset:528 ; 4-byte Folded Spill
	v_add_f64 v[4:5], v[92:93], v[4:5]
	v_add_f64 v[6:7], v[94:95], v[6:7]
	v_mul_f64 v[98:99], v[18:19], s[36:37]
	v_mul_f64 v[96:97], v[253:254], s[36:37]
	buffer_store_dword v108, off, s[64:67], 0 offset:276 ; 4-byte Folded Spill
	s_nop 0
	buffer_store_dword v109, off, s[64:67], 0 offset:280 ; 4-byte Folded Spill
	v_fma_f64 v[92:93], v[205:206], s[10:11], v[110:111]
	v_mul_f64 v[110:111], v[245:246], s[38:39]
	v_fma_f64 v[94:95], v[207:208], s[10:11], -v[118:119]
	v_mul_f64 v[118:119], v[12:13], s[40:41]
	v_add_f64 v[8:9], v[92:93], v[8:9]
	v_fma_f64 v[0:1], v[221:222], s[2:3], v[100:101]
	v_fma_f64 v[2:3], v[223:224], s[2:3], -v[112:113]
	v_add_f64 v[10:11], v[94:95], v[10:11]
	v_mul_f64 v[112:113], v[213:214], s[48:49]
	v_mul_f64 v[100:101], v[14:15], s[28:29]
	v_fma_f64 v[92:93], v[114:115], s[10:11], v[108:109]
	v_mul_f64 v[108:109], v[189:190], s[50:51]
	v_add_f64 v[0:1], v[0:1], v[4:5]
	v_add_f64 v[2:3], v[2:3], v[6:7]
	buffer_store_dword v0, off, s[64:67], 0 offset:16 ; 4-byte Folded Spill
	s_nop 0
	buffer_store_dword v1, off, s[64:67], 0 offset:20 ; 4-byte Folded Spill
	buffer_store_dword v2, off, s[64:67], 0 offset:24 ; 4-byte Folded Spill
	;; [unrolled: 1-line block ×4, first 2 shown]
	s_nop 0
	buffer_store_dword v97, off, s[64:67], 0 offset:536 ; 4-byte Folded Spill
	buffer_store_dword v98, off, s[64:67], 0 offset:548 ; 4-byte Folded Spill
	s_nop 0
	buffer_store_dword v99, off, s[64:67], 0 offset:552 ; 4-byte Folded Spill
	v_mul_f64 v[6:7], v[189:190], s[40:41]
	v_add_f64 v[4:5], v[20:21], v[92:93]
	v_mul_f64 v[189:190], v[189:190], s[44:45]
	v_fma_f64 v[0:1], v[221:222], s[20:21], v[96:97]
	v_fma_f64 v[2:3], v[223:224], s[20:21], -v[98:99]
	v_add_f64 v[0:1], v[0:1], v[8:9]
	v_add_f64 v[2:3], v[2:3], v[10:11]
	buffer_store_dword v0, off, s[64:67], 0 offset:32 ; 4-byte Folded Spill
	s_nop 0
	buffer_store_dword v1, off, s[64:67], 0 offset:36 ; 4-byte Folded Spill
	buffer_store_dword v2, off, s[64:67], 0 offset:40 ; 4-byte Folded Spill
	;; [unrolled: 1-line block ×4, first 2 shown]
	s_nop 0
	buffer_store_dword v7, off, s[64:67], 0 offset:584 ; 4-byte Folded Spill
	v_mul_f64 v[2:3], v[76:77], s[34:35]
	buffer_store_dword v2, off, s[64:67], 0 offset:620 ; 4-byte Folded Spill
	s_nop 0
	buffer_store_dword v3, off, s[64:67], 0 offset:624 ; 4-byte Folded Spill
	v_mov_b32_e32 v10, v162
	v_mul_f64 v[162:163], v[16:17], s[40:41]
	v_fma_f64 v[0:1], v[138:139], s[24:25], v[6:7]
	v_add_f64 v[0:1], v[0:1], v[4:5]
	v_mul_f64 v[4:5], v[177:178], s[40:41]
	buffer_store_dword v4, off, s[64:67], 0 offset:628 ; 4-byte Folded Spill
	s_nop 0
	buffer_store_dword v5, off, s[64:67], 0 offset:632 ; 4-byte Folded Spill
	v_fma_f64 v[2:3], v[116:117], s[10:11], -v[2:3]
	v_mul_f64 v[177:178], v[245:246], s[48:49]
	v_add_f64 v[2:3], v[22:23], v[2:3]
	v_fma_f64 v[4:5], v[142:143], s[24:25], -v[4:5]
	v_add_f64 v[2:3], v[4:5], v[2:3]
	v_mul_f64 v[4:5], v[213:214], s[46:47]
	buffer_store_dword v4, off, s[64:67], 0 offset:604 ; 4-byte Folded Spill
	s_nop 0
	buffer_store_dword v5, off, s[64:67], 0 offset:608 ; 4-byte Folded Spill
	v_mul_f64 v[213:214], v[213:214], s[36:37]
	v_fma_f64 v[4:5], v[152:153], s[16:17], v[4:5]
	v_add_f64 v[0:1], v[4:5], v[0:1]
	v_mul_f64 v[4:5], v[209:210], s[46:47]
	buffer_store_dword v4, off, s[64:67], 0 offset:652 ; 4-byte Folded Spill
	s_nop 0
	buffer_store_dword v5, off, s[64:67], 0 offset:656 ; 4-byte Folded Spill
	v_fma_f64 v[4:5], v[158:159], s[16:17], -v[4:5]
	v_add_f64 v[2:3], v[4:5], v[2:3]
	v_mul_f64 v[4:5], v[245:246], s[44:45]
	buffer_store_dword v4, off, s[64:67], 0 offset:596 ; 4-byte Folded Spill
	s_nop 0
	buffer_store_dword v5, off, s[64:67], 0 offset:600 ; 4-byte Folded Spill
	v_mul_f64 v[245:246], v[16:17], s[26:27]
	v_fma_f64 v[4:5], v[168:169], s[2:3], v[4:5]
	v_add_f64 v[0:1], v[4:5], v[0:1]
	v_mul_f64 v[4:5], v[243:244], s[44:45]
	buffer_store_dword v4, off, s[64:67], 0 offset:644 ; 4-byte Folded Spill
	s_nop 0
	buffer_store_dword v5, off, s[64:67], 0 offset:648 ; 4-byte Folded Spill
	v_fma_f64 v[4:5], v[170:171], s[2:3], -v[4:5]
	v_add_f64 v[2:3], v[4:5], v[2:3]
	v_mul_f64 v[4:5], v[12:13], s[38:39]
	buffer_store_dword v4, off, s[64:67], 0 offset:612 ; 4-byte Folded Spill
	s_nop 0
	buffer_store_dword v5, off, s[64:67], 0 offset:616 ; 4-byte Folded Spill
	v_fma_f64 v[4:5], v[183:184], s[6:7], v[4:5]
	v_add_f64 v[0:1], v[4:5], v[0:1]
	v_mul_f64 v[4:5], v[14:15], s[38:39]
	buffer_store_dword v4, off, s[64:67], 0 offset:660 ; 4-byte Folded Spill
	s_nop 0
	buffer_store_dword v5, off, s[64:67], 0 offset:664 ; 4-byte Folded Spill
	s_mov_b32 s39, 0x3fefdd0d
	s_mov_b32 s38, s34
	v_mul_f64 v[120:121], v[102:103], s[38:39]
	v_mul_f64 v[136:137], v[104:105], s[38:39]
	;; [unrolled: 1-line block ×4, first 2 shown]
	v_fma_f64 v[4:5], v[185:186], s[6:7], -v[4:5]
	v_add_f64 v[2:3], v[4:5], v[2:3]
	v_mul_f64 v[4:5], v[102:103], s[36:37]
	buffer_store_dword v4, off, s[64:67], 0 offset:636 ; 4-byte Folded Spill
	s_nop 0
	buffer_store_dword v5, off, s[64:67], 0 offset:640 ; 4-byte Folded Spill
	v_fma_f64 v[4:5], v[197:198], s[20:21], v[4:5]
	v_add_f64 v[0:1], v[4:5], v[0:1]
	v_mul_f64 v[4:5], v[104:105], s[36:37]
	buffer_store_dword v4, off, s[64:67], 0 offset:668 ; 4-byte Folded Spill
	s_nop 0
	buffer_store_dword v5, off, s[64:67], 0 offset:672 ; 4-byte Folded Spill
	v_fma_f64 v[4:5], v[199:200], s[20:21], -v[4:5]
	v_add_f64 v[2:3], v[4:5], v[2:3]
	v_mul_f64 v[4:5], v[16:17], s[52:53]
	buffer_store_dword v4, off, s[64:67], 0 offset:588 ; 4-byte Folded Spill
	s_nop 0
	buffer_store_dword v5, off, s[64:67], 0 offset:592 ; 4-byte Folded Spill
	v_fma_f64 v[4:5], v[205:206], s[18:19], v[4:5]
	v_add_f64 v[0:1], v[4:5], v[0:1]
	v_mul_f64 v[4:5], v[106:107], s[52:53]
	buffer_store_dword v4, off, s[64:67], 0 offset:676 ; 4-byte Folded Spill
	s_nop 0
	buffer_store_dword v5, off, s[64:67], 0 offset:680 ; 4-byte Folded Spill
	v_fma_f64 v[4:5], v[207:208], s[18:19], -v[4:5]
	v_add_f64 v[2:3], v[4:5], v[2:3]
	v_mul_f64 v[4:5], v[253:254], s[48:49]
	buffer_store_dword v4, off, s[64:67], 0 offset:572 ; 4-byte Folded Spill
	s_nop 0
	buffer_store_dword v5, off, s[64:67], 0 offset:576 ; 4-byte Folded Spill
	v_mul_f64 v[253:254], v[253:254], s[38:39]
	v_fma_f64 v[4:5], v[221:222], s[22:23], v[4:5]
	v_add_f64 v[4:5], v[4:5], v[0:1]
	v_mul_f64 v[0:1], v[18:19], s[48:49]
	buffer_store_dword v0, off, s[64:67], 0 offset:684 ; 4-byte Folded Spill
	s_nop 0
	buffer_store_dword v1, off, s[64:67], 0 offset:688 ; 4-byte Folded Spill
	v_fma_f64 v[0:1], v[223:224], s[22:23], -v[0:1]
	v_add_f64 v[6:7], v[0:1], v[2:3]
	v_mul_f64 v[0:1], v[78:79], s[26:27]
	buffer_store_dword v4, off, s[64:67], 0 offset:48 ; 4-byte Folded Spill
	s_nop 0
	buffer_store_dword v5, off, s[64:67], 0 offset:52 ; 4-byte Folded Spill
	buffer_store_dword v6, off, s[64:67], 0 offset:56 ; 4-byte Folded Spill
	buffer_store_dword v7, off, s[64:67], 0 offset:60 ; 4-byte Folded Spill
	buffer_store_dword v0, off, s[64:67], 0 offset:692 ; 4-byte Folded Spill
	s_nop 0
	buffer_store_dword v1, off, s[64:67], 0 offset:696 ; 4-byte Folded Spill
	v_fma_f64 v[2:3], v[138:139], s[20:21], v[108:109]
	v_fma_f64 v[4:5], v[142:143], s[20:21], -v[128:129]
	v_fma_f64 v[0:1], v[114:115], s[16:17], v[0:1]
	v_add_f64 v[0:1], v[20:21], v[0:1]
	v_add_f64 v[0:1], v[2:3], v[0:1]
	v_fma_f64 v[2:3], v[116:117], s[16:17], -v[126:127]
	v_add_f64 v[2:3], v[22:23], v[2:3]
	v_add_f64 v[2:3], v[4:5], v[2:3]
	v_fma_f64 v[4:5], v[152:153], s[22:23], v[112:113]
	v_add_f64 v[0:1], v[4:5], v[0:1]
	v_fma_f64 v[4:5], v[158:159], s[22:23], -v[132:133]
	v_add_f64 v[2:3], v[4:5], v[2:3]
	v_fma_f64 v[4:5], v[168:169], s[6:7], v[110:111]
	v_add_f64 v[0:1], v[4:5], v[0:1]
	v_fma_f64 v[4:5], v[170:171], s[6:7], -v[130:131]
	;; [unrolled: 4-line block ×6, first 2 shown]
	v_add_f64 v[6:7], v[0:1], v[2:3]
	v_fma_f64 v[0:1], v[114:115], s[18:19], v[146:147]
	v_fma_f64 v[2:3], v[138:139], s[16:17], v[148:149]
	buffer_store_dword v4, off, s[64:67], 0 offset:64 ; 4-byte Folded Spill
	s_nop 0
	buffer_store_dword v5, off, s[64:67], 0 offset:68 ; 4-byte Folded Spill
	buffer_store_dword v6, off, s[64:67], 0 offset:72 ; 4-byte Folded Spill
	;; [unrolled: 1-line block ×3, first 2 shown]
	v_add_f64 v[0:1], v[20:21], v[0:1]
	v_fma_f64 v[4:5], v[142:143], s[16:17], -v[172:173]
	v_add_f64 v[0:1], v[2:3], v[0:1]
	v_fma_f64 v[2:3], v[116:117], s[18:19], -v[166:167]
	v_add_f64 v[2:3], v[22:23], v[2:3]
	v_add_f64 v[2:3], v[4:5], v[2:3]
	v_fma_f64 v[4:5], v[152:153], s[2:3], v[154:155]
	v_add_f64 v[0:1], v[4:5], v[0:1]
	v_fma_f64 v[4:5], v[158:159], s[2:3], -v[179:180]
	v_add_f64 v[2:3], v[4:5], v[2:3]
	v_fma_f64 v[4:5], v[168:169], s[20:21], v[150:151]
	v_add_f64 v[0:1], v[4:5], v[0:1]
	v_fma_f64 v[4:5], v[170:171], s[20:21], -v[174:175]
	;; [unrolled: 4-line block ×6, first 2 shown]
	v_fma_f64 v[4:5], v[142:143], s[6:7], -v[229:230]
	v_add_f64 v[94:95], v[0:1], v[2:3]
	v_fma_f64 v[0:1], v[114:115], s[20:21], v[195:196]
	v_fma_f64 v[2:3], v[138:139], s[6:7], v[201:202]
	v_add_f64 v[0:1], v[20:21], v[0:1]
	v_add_f64 v[0:1], v[2:3], v[0:1]
	v_fma_f64 v[2:3], v[116:117], s[20:21], -v[227:228]
	v_add_f64 v[2:3], v[22:23], v[2:3]
	v_add_f64 v[2:3], v[4:5], v[2:3]
	v_fma_f64 v[4:5], v[152:153], s[10:11], v[211:212]
	v_add_f64 v[0:1], v[4:5], v[0:1]
	v_fma_f64 v[4:5], v[158:159], s[10:11], -v[233:234]
	v_add_f64 v[2:3], v[4:5], v[2:3]
	v_fma_f64 v[4:5], v[168:169], s[18:19], v[203:204]
	v_add_f64 v[0:1], v[4:5], v[0:1]
	v_fma_f64 v[4:5], v[170:171], s[18:19], -v[231:232]
	;; [unrolled: 4-line block ×6, first 2 shown]
	v_fma_f64 v[4:5], v[142:143], s[2:3], -v[249:250]
	v_add_f64 v[98:99], v[0:1], v[2:3]
	v_fma_f64 v[0:1], v[114:115], s[24:25], v[247:248]
	v_fma_f64 v[2:3], v[138:139], s[2:3], v[189:190]
	v_add_f64 v[0:1], v[20:21], v[0:1]
	v_add_f64 v[0:1], v[2:3], v[0:1]
	v_fma_f64 v[2:3], v[116:117], s[24:25], -v[251:252]
	v_add_f64 v[2:3], v[22:23], v[2:3]
	v_add_f64 v[2:3], v[4:5], v[2:3]
	v_fma_f64 v[4:5], v[152:153], s[20:21], v[213:214]
	v_add_f64 v[4:5], v[4:5], v[0:1]
	v_mul_f64 v[0:1], v[209:210], s[36:37]
	v_mul_f64 v[209:210], v[12:13], s[28:29]
	v_fma_f64 v[6:7], v[158:159], s[20:21], -v[0:1]
	v_add_f64 v[6:7], v[6:7], v[2:3]
	v_fma_f64 v[2:3], v[168:169], s[22:23], v[177:178]
	v_add_f64 v[4:5], v[2:3], v[4:5]
	v_mul_f64 v[2:3], v[243:244], s[48:49]
	v_mul_f64 v[243:244], v[102:103], s[42:43]
	;; [unrolled: 1-line block ×5, first 2 shown]
	s_load_dwordx2 s[26:27], s[4:5], 0x20
	s_load_dwordx2 s[8:9], s[4:5], 0x8
	s_waitcnt vmcnt(0) lgkmcnt(0)
	s_barrier
	v_fma_f64 v[8:9], v[170:171], s[22:23], -v[2:3]
	buffer_store_dword v10, off, s[64:67], 0 offset:92 ; 4-byte Folded Spill
	v_add_f64 v[6:7], v[8:9], v[6:7]
	v_fma_f64 v[8:9], v[183:184], s[18:19], v[209:210]
	v_add_f64 v[4:5], v[8:9], v[4:5]
	v_fma_f64 v[8:9], v[185:186], s[18:19], -v[100:101]
	v_add_f64 v[6:7], v[8:9], v[6:7]
	v_fma_f64 v[8:9], v[197:198], s[6:7], v[243:244]
	v_add_f64 v[4:5], v[8:9], v[4:5]
	v_fma_f64 v[8:9], v[199:200], s[6:7], -v[102:103]
	;; [unrolled: 4-line block ×4, first 2 shown]
	v_add_f64 v[78:79], v[4:5], v[6:7]
	v_mul_lo_u16_e32 v4, 17, v10
	buffer_store_dword v4, off, s[64:67], 0 offset:96 ; 4-byte Folded Spill
	s_and_saveexec_b64 s[4:5], s[0:1]
	s_cbranch_execz .LBB0_7
; %bb.6:
	v_mul_f64 v[16:17], v[170:171], s[22:23]
	v_mul_f64 v[18:19], v[142:143], s[2:3]
	v_add_f64 v[6:7], v[20:21], v[72:73]
	v_mul_f64 v[72:73], v[114:115], s[24:25]
	v_add_f64 v[4:5], v[22:23], v[74:75]
	v_mul_f64 v[74:75], v[138:139], s[2:3]
	v_mul_f64 v[14:15], v[185:186], s[18:19]
	;; [unrolled: 1-line block ×3, first 2 shown]
	v_add_f64 v[2:3], v[2:3], v[16:17]
	v_mul_f64 v[16:17], v[158:159], s[20:21]
	v_add_f64 v[18:19], v[249:250], v[18:19]
	v_add_f64 v[72:73], v[72:73], -v[247:248]
	v_add_f64 v[6:7], v[6:7], v[80:81]
	v_add_f64 v[74:75], v[74:75], -v[189:190]
	v_add_f64 v[4:5], v[4:5], v[82:83]
	v_add_f64 v[14:15], v[100:101], v[14:15]
	v_add_f64 v[12:13], v[102:103], v[12:13]
	v_add_f64 v[0:1], v[0:1], v[16:17]
	v_mul_f64 v[16:17], v[116:117], s[24:25]
	buffer_load_dword v80, off, s[64:67], 0 offset:692 ; 4-byte Folded Reload
	buffer_load_dword v81, off, s[64:67], 0 offset:696 ; 4-byte Folded Reload
	v_add_f64 v[6:7], v[6:7], v[84:85]
	buffer_load_dword v82, off, s[64:67], 0 offset:652 ; 4-byte Folded Reload
	buffer_load_dword v83, off, s[64:67], 0 offset:656 ; 4-byte Folded Reload
	v_add_f64 v[4:5], v[4:5], v[86:87]
	buffer_load_dword v84, off, s[64:67], 0 offset:620 ; 4-byte Folded Reload
	buffer_load_dword v85, off, s[64:67], 0 offset:624 ; 4-byte Folded Reload
	;; [unrolled: 1-line block ×4, first 2 shown]
	v_add_f64 v[16:17], v[251:252], v[16:17]
	v_add_f64 v[10:11], v[6:7], v[88:89]
	v_mul_f64 v[6:7], v[207:208], s[16:17]
	v_add_f64 v[8:9], v[4:5], v[90:91]
	v_mul_f64 v[4:5], v[223:224], s[10:11]
	v_add_f64 v[16:17], v[22:23], v[16:17]
	v_add_f64 v[6:7], v[104:105], v[6:7]
	;; [unrolled: 1-line block ×5, first 2 shown]
	v_mul_f64 v[18:19], v[152:153], s[20:21]
	v_add_f64 v[8:9], v[8:9], v[34:35]
	v_add_f64 v[0:1], v[0:1], v[16:17]
	;; [unrolled: 1-line block ×3, first 2 shown]
	v_add_f64 v[18:19], v[18:19], -v[213:214]
	v_mul_f64 v[72:73], v[168:169], s[22:23]
	v_add_f64 v[8:9], v[8:9], v[26:27]
	v_add_f64 v[0:1], v[2:3], v[0:1]
	;; [unrolled: 1-line block ×3, first 2 shown]
	v_mul_f64 v[74:75], v[114:115], s[16:17]
	v_add_f64 v[72:73], v[72:73], -v[177:178]
	v_add_f64 v[8:9], v[8:9], v[30:31]
	v_add_f64 v[0:1], v[14:15], v[0:1]
	;; [unrolled: 1-line block ×3, first 2 shown]
	v_mul_f64 v[18:19], v[183:184], s[18:19]
	v_mul_f64 v[14:15], v[205:206], s[16:17]
	v_add_f64 v[8:9], v[8:9], v[38:39]
	v_add_f64 v[0:1], v[12:13], v[0:1]
	;; [unrolled: 1-line block ×3, first 2 shown]
	v_add_f64 v[18:19], v[18:19], -v[209:210]
	v_mul_f64 v[16:17], v[197:198], s[6:7]
	v_add_f64 v[14:15], v[14:15], -v[245:246]
	v_mul_f64 v[12:13], v[221:222], s[10:11]
	v_add_f64 v[8:9], v[8:9], v[42:43]
	v_add_f64 v[0:1], v[6:7], v[0:1]
	;; [unrolled: 1-line block ×3, first 2 shown]
	v_add_f64 v[16:17], v[16:17], -v[243:244]
	v_mul_f64 v[18:19], v[114:115], s[18:19]
	v_add_f64 v[12:13], v[12:13], -v[253:254]
	v_add_f64 v[8:9], v[8:9], v[46:47]
	v_add_f64 v[2:3], v[16:17], v[2:3]
	v_mul_f64 v[16:17], v[138:139], s[6:7]
	v_add_f64 v[18:19], v[18:19], -v[146:147]
	v_mul_f64 v[146:147], v[183:184], s[20:21]
	v_add_f64 v[8:9], v[8:9], v[50:51]
	s_waitcnt vmcnt(6)
	v_add_f64 v[74:75], v[74:75], -v[80:81]
	v_mul_f64 v[80:81], v[138:139], s[20:21]
	v_add_f64 v[6:7], v[14:15], v[2:3]
	v_add_f64 v[2:3], v[4:5], v[0:1]
	v_mul_f64 v[4:5], v[158:159], s[10:11]
	v_mul_f64 v[14:15], v[114:115], s[20:21]
	v_add_f64 v[16:17], v[16:17], -v[201:202]
	v_add_f64 v[18:19], v[20:21], v[18:19]
	v_add_f64 v[74:75], v[20:21], v[74:75]
	v_add_f64 v[80:81], v[80:81], -v[108:109]
	v_add_f64 v[0:1], v[12:13], v[6:7]
	v_mul_f64 v[6:7], v[116:117], s[20:21]
	v_mul_f64 v[12:13], v[142:143], s[6:7]
	v_add_f64 v[4:5], v[233:234], v[4:5]
	v_add_f64 v[14:15], v[14:15], -v[195:196]
	v_add_f64 v[8:9], v[8:9], v[54:55]
	v_add_f64 v[74:75], v[80:81], v[74:75]
	v_mul_f64 v[80:81], v[168:169], s[6:7]
	v_add_f64 v[6:7], v[227:228], v[6:7]
	v_add_f64 v[12:13], v[229:230], v[12:13]
	;; [unrolled: 1-line block ×4, first 2 shown]
	v_add_f64 v[80:81], v[80:81], -v[110:111]
	v_add_f64 v[6:7], v[22:23], v[6:7]
	v_mul_f64 v[110:111], v[116:117], s[22:23]
	v_add_f64 v[14:15], v[16:17], v[14:15]
	v_mul_f64 v[16:17], v[168:169], s[18:19]
	v_add_f64 v[8:9], v[8:9], v[62:63]
	v_add_f64 v[6:7], v[12:13], v[6:7]
	v_mul_f64 v[12:13], v[170:171], s[18:19]
	v_add_f64 v[16:17], v[16:17], -v[203:204]
	v_add_f64 v[4:5], v[4:5], v[6:7]
	v_add_f64 v[12:13], v[231:232], v[12:13]
	v_mul_f64 v[6:7], v[185:186], s[2:3]
	v_add_f64 v[4:5], v[12:13], v[4:5]
	v_add_f64 v[6:7], v[235:236], v[6:7]
	v_mul_f64 v[12:13], v[199:200], s[24:25]
	;; [unrolled: 3-line block ×4, first 2 shown]
	v_add_f64 v[4:5], v[6:7], v[4:5]
	v_mul_f64 v[6:7], v[152:153], s[10:11]
	v_add_f64 v[12:13], v[241:242], v[12:13]
	v_add_f64 v[6:7], v[6:7], -v[211:212]
	v_add_f64 v[6:7], v[6:7], v[14:15]
	v_mul_f64 v[14:15], v[183:184], s[2:3]
	v_add_f64 v[6:7], v[16:17], v[6:7]
	v_add_f64 v[14:15], v[14:15], -v[215:216]
	v_mul_f64 v[16:17], v[197:198], s[24:25]
	v_add_f64 v[6:7], v[14:15], v[6:7]
	v_add_f64 v[16:17], v[16:17], -v[217:218]
	;; [unrolled: 3-line block ×4, first 2 shown]
	v_add_f64 v[6:7], v[12:13], v[4:5]
	v_add_f64 v[12:13], v[10:11], v[68:69]
	v_mul_f64 v[10:11], v[158:159], s[2:3]
	v_mul_f64 v[68:69], v[138:139], s[16:17]
	v_add_f64 v[4:5], v[16:17], v[14:15]
	v_mul_f64 v[14:15], v[116:117], s[18:19]
	v_mul_f64 v[16:17], v[142:143], s[16:17]
	v_add_f64 v[10:11], v[179:180], v[10:11]
	v_add_f64 v[68:69], v[68:69], -v[148:149]
	v_add_f64 v[12:13], v[12:13], v[32:33]
	v_mul_f64 v[148:149], v[185:186], s[20:21]
	v_add_f64 v[14:15], v[166:167], v[14:15]
	v_add_f64 v[16:17], v[172:173], v[16:17]
	v_mul_f64 v[166:167], v[223:224], s[20:21]
	v_add_f64 v[18:19], v[68:69], v[18:19]
	v_mul_f64 v[68:69], v[168:169], s[20:21]
	v_add_f64 v[12:13], v[12:13], v[24:25]
	v_add_f64 v[14:15], v[22:23], v[14:15]
	v_add_f64 v[68:69], v[68:69], -v[150:151]
	v_add_f64 v[12:13], v[12:13], v[28:29]
	v_add_f64 v[14:15], v[16:17], v[14:15]
	v_mul_f64 v[16:17], v[170:171], s[20:21]
	v_add_f64 v[12:13], v[12:13], v[36:37]
	v_add_f64 v[10:11], v[10:11], v[14:15]
	v_add_f64 v[16:17], v[174:175], v[16:17]
	v_mul_f64 v[14:15], v[185:186], s[10:11]
	v_add_f64 v[12:13], v[12:13], v[40:41]
	;; [unrolled: 4-line block ×5, first 2 shown]
	v_add_f64 v[10:11], v[14:15], v[10:11]
	v_mul_f64 v[14:15], v[152:153], s[2:3]
	v_add_f64 v[16:17], v[193:194], v[16:17]
	v_add_f64 v[12:13], v[12:13], v[56:57]
	v_add_f64 v[14:15], v[14:15], -v[154:155]
	v_mul_f64 v[154:155], v[197:198], s[2:3]
	v_add_f64 v[10:11], v[16:17], v[10:11]
	v_add_f64 v[12:13], v[12:13], v[60:61]
	v_add_f64 v[14:15], v[14:15], v[18:19]
	v_mul_f64 v[18:19], v[183:184], s[10:11]
	v_add_f64 v[14:15], v[68:69], v[14:15]
	v_add_f64 v[18:19], v[18:19], -v[156:157]
	v_mul_f64 v[68:69], v[197:198], s[22:23]
	v_add_f64 v[14:15], v[18:19], v[14:15]
	v_add_f64 v[68:69], v[68:69], -v[160:161]
	v_mul_f64 v[18:19], v[205:206], s[24:25]
	v_mul_f64 v[160:161], v[205:206], s[10:11]
	v_add_f64 v[14:15], v[68:69], v[14:15]
	v_add_f64 v[18:19], v[18:19], -v[162:163]
	v_mul_f64 v[68:69], v[221:222], s[6:7]
	v_add_f64 v[72:73], v[18:19], v[14:15]
	v_mul_f64 v[18:19], v[116:117], s[16:17]
	v_add_f64 v[70:71], v[68:69], -v[164:165]
	v_mul_f64 v[68:69], v[142:143], s[20:21]
	v_mul_f64 v[14:15], v[158:159], s[22:23]
	v_add_f64 v[18:19], v[126:127], v[18:19]
	v_add_f64 v[68:69], v[128:129], v[68:69]
	v_add_f64 v[14:15], v[132:133], v[14:15]
	v_mul_f64 v[132:133], v[152:153], s[24:25]
	v_add_f64 v[18:19], v[22:23], v[18:19]
	v_add_f64 v[18:19], v[68:69], v[18:19]
	v_mul_f64 v[68:69], v[170:171], s[6:7]
	v_add_f64 v[14:15], v[14:15], v[18:19]
	v_add_f64 v[68:69], v[130:131], v[68:69]
	v_mul_f64 v[18:19], v[185:186], s[24:25]
	v_mul_f64 v[130:131], v[158:159], s[18:19]
	v_add_f64 v[14:15], v[68:69], v[14:15]
	v_add_f64 v[18:19], v[134:135], v[18:19]
	v_mul_f64 v[68:69], v[199:200], s[10:11]
	v_add_f64 v[14:15], v[18:19], v[14:15]
	v_add_f64 v[68:69], v[136:137], v[68:69]
	;; [unrolled: 3-line block ×3, first 2 shown]
	v_mul_f64 v[68:69], v[223:224], s[18:19]
	v_mul_f64 v[140:141], v[170:171], s[24:25]
	v_add_f64 v[14:15], v[18:19], v[14:15]
	v_mul_f64 v[18:19], v[152:153], s[22:23]
	v_add_f64 v[68:69], v[144:145], v[68:69]
	v_add_f64 v[18:19], v[18:19], -v[112:113]
	v_add_f64 v[14:15], v[68:69], v[14:15]
	v_add_f64 v[18:19], v[18:19], v[74:75]
	v_mul_f64 v[74:75], v[183:184], s[24:25]
	v_add_f64 v[18:19], v[80:81], v[18:19]
	v_add_f64 v[74:75], v[74:75], -v[118:119]
	v_mul_f64 v[80:81], v[197:198], s[10:11]
	v_add_f64 v[18:19], v[74:75], v[18:19]
	v_add_f64 v[80:81], v[80:81], -v[120:121]
	v_mul_f64 v[74:75], v[205:206], s[2:3]
	v_mul_f64 v[120:121], v[142:143], s[10:11]
	v_add_f64 v[18:19], v[80:81], v[18:19]
	v_add_f64 v[74:75], v[74:75], -v[122:123]
	v_mul_f64 v[80:81], v[221:222], s[18:19]
	v_mul_f64 v[122:123], v[138:139], s[18:19]
	v_add_f64 v[74:75], v[74:75], v[18:19]
	v_mul_f64 v[18:19], v[158:159], s[16:17]
	v_add_f64 v[80:81], v[80:81], -v[124:125]
	s_waitcnt vmcnt(4)
	v_add_f64 v[18:19], v[82:83], v[18:19]
	v_mul_f64 v[82:83], v[116:117], s[10:11]
	s_waitcnt vmcnt(2)
	v_add_f64 v[82:83], v[84:85], v[82:83]
	v_mul_f64 v[84:85], v[142:143], s[24:25]
	v_add_f64 v[82:83], v[22:23], v[82:83]
	s_waitcnt vmcnt(0)
	v_add_f64 v[84:85], v[86:87], v[84:85]
	buffer_load_dword v86, off, s[64:67], 0 offset:644 ; 4-byte Folded Reload
	buffer_load_dword v87, off, s[64:67], 0 offset:648 ; 4-byte Folded Reload
	v_add_f64 v[82:83], v[84:85], v[82:83]
	v_mul_f64 v[84:85], v[170:171], s[2:3]
	v_add_f64 v[18:19], v[18:19], v[82:83]
	v_mul_f64 v[82:83], v[185:186], s[6:7]
	s_waitcnt vmcnt(0)
	v_add_f64 v[84:85], v[86:87], v[84:85]
	buffer_load_dword v86, off, s[64:67], 0 offset:660 ; 4-byte Folded Reload
	buffer_load_dword v87, off, s[64:67], 0 offset:664 ; 4-byte Folded Reload
	v_add_f64 v[18:19], v[84:85], v[18:19]
	v_mul_f64 v[84:85], v[199:200], s[20:21]
	s_waitcnt vmcnt(0)
	v_add_f64 v[82:83], v[86:87], v[82:83]
	buffer_load_dword v86, off, s[64:67], 0 offset:668 ; 4-byte Folded Reload
	buffer_load_dword v87, off, s[64:67], 0 offset:672 ; 4-byte Folded Reload
	;; [unrolled: 6-line block ×5, first 2 shown]
	buffer_load_dword v88, off, s[64:67], 0 offset:604 ; 4-byte Folded Reload
	buffer_load_dword v89, off, s[64:67], 0 offset:608 ; 4-byte Folded Reload
	;; [unrolled: 1-line block ×6, first 2 shown]
	v_add_f64 v[68:69], v[84:85], v[18:19]
	s_waitcnt vmcnt(6)
	v_add_f64 v[82:83], v[82:83], -v[86:87]
	v_mul_f64 v[86:87], v[152:153], s[16:17]
	s_waitcnt vmcnt(4)
	v_add_f64 v[86:87], v[86:87], -v[88:89]
	v_mul_f64 v[88:89], v[114:115], s[10:11]
	s_waitcnt vmcnt(2)
	v_add_f64 v[88:89], v[88:89], -v[90:91]
	v_mul_f64 v[90:91], v[138:139], s[24:25]
	v_add_f64 v[88:89], v[20:21], v[88:89]
	s_waitcnt vmcnt(0)
	v_add_f64 v[90:91], v[90:91], -v[100:101]
	buffer_load_dword v100, off, s[64:67], 0 offset:596 ; 4-byte Folded Reload
	buffer_load_dword v101, off, s[64:67], 0 offset:600 ; 4-byte Folded Reload
	v_add_f64 v[88:89], v[90:91], v[88:89]
	v_mul_f64 v[90:91], v[168:169], s[2:3]
	v_add_f64 v[86:87], v[86:87], v[88:89]
	v_mul_f64 v[88:89], v[183:184], s[6:7]
	s_waitcnt vmcnt(0)
	v_add_f64 v[90:91], v[90:91], -v[100:101]
	buffer_load_dword v100, off, s[64:67], 0 offset:612 ; 4-byte Folded Reload
	buffer_load_dword v101, off, s[64:67], 0 offset:616 ; 4-byte Folded Reload
	v_add_f64 v[86:87], v[90:91], v[86:87]
	v_mul_f64 v[90:91], v[158:159], s[24:25]
	s_waitcnt vmcnt(0)
	v_add_f64 v[88:89], v[88:89], -v[100:101]
	buffer_load_dword v100, off, s[64:67], 0 offset:412 ; 4-byte Folded Reload
	buffer_load_dword v101, off, s[64:67], 0 offset:416 ; 4-byte Folded Reload
	;; [unrolled: 1-line block ×6, first 2 shown]
	v_add_f64 v[86:87], v[88:89], v[86:87]
	v_mul_f64 v[88:89], v[114:115], s[2:3]
	v_add_f64 v[82:83], v[82:83], v[86:87]
	v_mul_f64 v[86:87], v[114:115], s[22:23]
	v_mul_f64 v[114:115], v[114:115], s[6:7]
	s_waitcnt vmcnt(4)
	v_add_f64 v[90:91], v[100:101], v[90:91]
	v_mul_f64 v[100:101], v[116:117], s[6:7]
	s_waitcnt vmcnt(2)
	v_add_f64 v[100:101], v[102:103], v[100:101]
	v_mul_f64 v[102:103], v[142:143], s[18:19]
	v_add_f64 v[100:101], v[22:23], v[100:101]
	s_waitcnt vmcnt(0)
	v_add_f64 v[102:103], v[104:105], v[102:103]
	buffer_load_dword v104, off, s[64:67], 0 offset:460 ; 4-byte Folded Reload
	buffer_load_dword v105, off, s[64:67], 0 offset:464 ; 4-byte Folded Reload
	;; [unrolled: 1-line block ×8, first 2 shown]
	v_add_f64 v[100:101], v[102:103], v[100:101]
	v_mul_f64 v[102:103], v[170:171], s[16:17]
	v_add_f64 v[90:91], v[90:91], v[100:101]
	v_mul_f64 v[100:101], v[185:186], s[22:23]
	s_waitcnt vmcnt(6)
	v_add_f64 v[102:103], v[104:105], v[102:103]
	v_mul_f64 v[104:105], v[205:206], s[18:19]
	s_waitcnt vmcnt(2)
	v_add_f64 v[100:101], v[108:109], v[100:101]
	v_mul_f64 v[108:109], v[116:117], s[2:3]
	buffer_load_dword v116, off, s[64:67], 0 offset:572 ; 4-byte Folded Reload
	buffer_load_dword v117, off, s[64:67], 0 offset:576 ; 4-byte Folded Reload
	;; [unrolled: 1-line block ×10, first 2 shown]
	v_add_f64 v[104:105], v[104:105], -v[106:107]
	v_mul_f64 v[106:107], v[199:200], s[2:3]
	buffer_load_dword v134, off, s[64:67], 0 offset:308 ; 4-byte Folded Reload
	buffer_load_dword v135, off, s[64:67], 0 offset:312 ; 4-byte Folded Reload
	;; [unrolled: 1-line block ×4, first 2 shown]
	v_add_f64 v[90:91], v[102:103], v[90:91]
	v_mul_f64 v[102:103], v[221:222], s[22:23]
	v_add_f64 v[82:83], v[104:105], v[82:83]
	s_waitcnt vmcnt(14)
	v_add_f64 v[106:107], v[112:113], v[106:107]
	v_mul_f64 v[112:113], v[207:208], s[10:11]
	v_mul_f64 v[104:105], v[168:169], s[16:17]
	v_add_f64 v[90:91], v[100:101], v[90:91]
	v_mul_f64 v[100:101], v[138:139], s[22:23]
	v_add_f64 v[90:91], v[106:107], v[90:91]
	v_mul_f64 v[106:107], v[138:139], s[10:11]
	v_mul_f64 v[138:139], v[168:169], s[24:25]
	s_waitcnt vmcnt(12)
	v_add_f64 v[102:103], v[102:103], -v[116:117]
	s_waitcnt vmcnt(10)
	v_add_f64 v[112:113], v[118:119], v[112:113]
	v_mul_f64 v[118:119], v[142:143], s[22:23]
	buffer_load_dword v142, off, s[64:67], 0 offset:356 ; 4-byte Folded Reload
	buffer_load_dword v143, off, s[64:67], 0 offset:360 ; 4-byte Folded Reload
	buffer_load_dword v144, off, s[64:67], 0 offset:268 ; 4-byte Folded Reload
	buffer_load_dword v145, off, s[64:67], 0 offset:272 ; 4-byte Folded Reload
	buffer_load_dword v150, off, s[64:67], 0 offset:324 ; 4-byte Folded Reload
	buffer_load_dword v151, off, s[64:67], 0 offset:328 ; 4-byte Folded Reload
	buffer_load_dword v156, off, s[64:67], 0 offset:372 ; 4-byte Folded Reload
	buffer_load_dword v157, off, s[64:67], 0 offset:376 ; 4-byte Folded Reload
	buffer_load_dword v162, off, s[64:67], 0 offset:404 ; 4-byte Folded Reload
	buffer_load_dword v163, off, s[64:67], 0 offset:408 ; 4-byte Folded Reload
	buffer_load_dword v164, off, s[64:67], 0 offset:452 ; 4-byte Folded Reload
	buffer_load_dword v165, off, s[64:67], 0 offset:456 ; 4-byte Folded Reload
	buffer_load_dword v18, off, s[64:67], 0 offset:548 ; 4-byte Folded Reload
	buffer_load_dword v19, off, s[64:67], 0 offset:552 ; 4-byte Folded Reload
	buffer_load_dword v32, off, s[64:67], 0 offset:444 ; 4-byte Folded Reload
	buffer_load_dword v33, off, s[64:67], 0 offset:448 ; 4-byte Folded Reload
	v_add_f64 v[84:85], v[112:113], v[90:91]
	buffer_load_dword v90, off, s[64:67], 0 offset:508 ; 4-byte Folded Reload
	buffer_load_dword v91, off, s[64:67], 0 offset:512 ; 4-byte Folded Reload
	;; [unrolled: 1-line block ×4, first 2 shown]
	s_waitcnt vmcnt(24)
	v_add_f64 v[114:115], v[114:115], -v[128:129]
	s_waitcnt vmcnt(22)
	v_add_f64 v[122:123], v[122:123], -v[134:135]
	v_mul_f64 v[116:117], v[183:184], s[22:23]
	v_add_f64 v[104:105], v[104:105], -v[126:127]
	v_mul_f64 v[134:135], v[168:169], s[10:11]
	v_mul_f64 v[168:169], v[221:222], s[20:21]
	s_waitcnt vmcnt(20)
	v_add_f64 v[110:111], v[136:137], v[110:111]
	v_mul_f64 v[126:127], v[158:159], s[6:7]
	v_add_f64 v[114:115], v[20:21], v[114:115]
	v_mul_f64 v[128:129], v[152:153], s[18:19]
	v_add_f64 v[116:117], v[116:117], -v[124:125]
	v_mul_f64 v[124:125], v[152:153], s[6:7]
	v_mul_f64 v[136:137], v[170:171], s[10:11]
	;; [unrolled: 1-line block ×3, first 2 shown]
	v_add_f64 v[110:111], v[22:23], v[110:111]
	v_mul_f64 v[158:159], v[207:208], s[6:7]
	v_add_f64 v[114:115], v[122:123], v[114:115]
	v_mul_f64 v[122:123], v[197:198], s[18:19]
	s_waitcnt vmcnt(18)
	v_add_f64 v[132:133], v[132:133], -v[142:143]
	s_waitcnt vmcnt(16)
	v_add_f64 v[120:121], v[144:145], v[120:121]
	v_mul_f64 v[144:145], v[185:186], s[16:17]
	v_mul_f64 v[142:143], v[183:184], s[16:17]
	s_waitcnt vmcnt(14)
	v_add_f64 v[130:131], v[150:151], v[130:131]
	v_mul_f64 v[150:151], v[199:200], s[18:19]
	s_waitcnt vmcnt(12)
	v_add_f64 v[140:141], v[156:157], v[140:141]
	s_waitcnt vmcnt(4)
	v_add_f64 v[32:33], v[154:155], -v[32:33]
	v_add_f64 v[114:115], v[132:133], v[114:115]
	v_add_f64 v[110:111], v[120:121], v[110:111]
	v_mul_f64 v[120:121], v[197:198], s[16:17]
	v_add_f64 v[148:149], v[162:163], v[148:149]
	v_mul_f64 v[156:157], v[207:208], s[20:21]
	;; [unrolled: 2-line block ×3, first 2 shown]
	s_waitcnt vmcnt(2)
	v_add_f64 v[90:91], v[90:91], v[158:159]
	v_add_f64 v[104:105], v[104:105], v[114:115]
	;; [unrolled: 1-line block ×3, first 2 shown]
	v_mul_f64 v[132:133], v[205:206], s[20:21]
	v_mul_f64 v[130:131], v[205:206], s[6:7]
	;; [unrolled: 1-line block ×4, first 2 shown]
	v_add_f64 v[18:19], v[18:19], v[166:167]
	v_add_f64 v[34:35], v[116:117], v[104:105]
	s_waitcnt vmcnt(0)
	v_add_f64 v[104:105], v[168:169], -v[24:25]
	buffer_load_dword v24, off, s[64:67], 0 offset:516 ; 4-byte Folded Reload
	buffer_load_dword v25, off, s[64:67], 0 offset:520 ; 4-byte Folded Reload
	v_add_f64 v[110:111], v[140:141], v[110:111]
	v_mul_f64 v[140:141], v[221:222], s[2:3]
	v_add_f64 v[26:27], v[32:33], v[34:35]
	buffer_load_dword v32, off, s[64:67], 0 offset:524 ; 4-byte Folded Reload
	buffer_load_dword v33, off, s[64:67], 0 offset:528 ; 4-byte Folded Reload
	;; [unrolled: 1-line block ×8, first 2 shown]
	v_add_f64 v[16:17], v[148:149], v[110:111]
	v_add_f64 v[16:17], v[152:153], v[16:17]
	;; [unrolled: 1-line block ×3, first 2 shown]
	s_waitcnt vmcnt(8)
	v_add_f64 v[24:25], v[160:161], -v[24:25]
	s_waitcnt vmcnt(6)
	v_add_f64 v[32:33], v[32:33], v[164:165]
	s_waitcnt vmcnt(4)
	v_add_f64 v[34:35], v[34:35], v[108:109]
	s_waitcnt vmcnt(2)
	v_add_f64 v[28:29], v[88:89], -v[28:29]
	s_waitcnt vmcnt(0)
	v_add_f64 v[30:31], v[86:87], -v[30:31]
	buffer_load_dword v86, off, s[64:67], 0 offset:188 ; 4-byte Folded Reload
	buffer_load_dword v87, off, s[64:67], 0 offset:192 ; 4-byte Folded Reload
	;; [unrolled: 1-line block ×4, first 2 shown]
	v_add_f64 v[46:47], v[24:25], v[26:27]
	v_add_f64 v[25:26], v[32:33], v[16:17]
	;; [unrolled: 1-line block ×3, first 2 shown]
	buffer_load_dword v34, off, s[64:67], 0 offset:140 ; 4-byte Folded Reload
	buffer_load_dword v35, off, s[64:67], 0 offset:144 ; 4-byte Folded Reload
	v_add_f64 v[28:29], v[20:21], v[28:29]
	v_add_f64 v[20:21], v[20:21], v[30:31]
	buffer_load_dword v30, off, s[64:67], 0 offset:236 ; 4-byte Folded Reload
	buffer_load_dword v31, off, s[64:67], 0 offset:240 ; 4-byte Folded Reload
	;; [unrolled: 1-line block ×6, first 2 shown]
	s_waitcnt vmcnt(10)
	v_add_f64 v[86:87], v[106:107], -v[86:87]
	s_waitcnt vmcnt(8)
	v_add_f64 v[88:89], v[88:89], v[118:119]
	s_waitcnt vmcnt(6)
	v_add_f64 v[34:35], v[100:101], -v[34:35]
	v_add_f64 v[20:21], v[86:87], v[20:21]
	v_add_f64 v[22:23], v[88:89], v[22:23]
	s_waitcnt vmcnt(2)
	v_add_f64 v[36:37], v[36:37], v[126:127]
	v_add_f64 v[30:31], v[128:129], -v[30:31]
	s_waitcnt vmcnt(0)
	v_add_f64 v[38:39], v[124:125], -v[38:39]
	v_add_f64 v[28:29], v[34:35], v[28:29]
	buffer_load_dword v34, off, s[64:67], 0 offset:316 ; 4-byte Folded Reload
	buffer_load_dword v35, off, s[64:67], 0 offset:320 ; 4-byte Folded Reload
	;; [unrolled: 1-line block ×4, first 2 shown]
	v_add_f64 v[22:23], v[36:37], v[22:23]
	buffer_load_dword v36, off, s[64:67], 0 offset:292 ; 4-byte Folded Reload
	buffer_load_dword v37, off, s[64:67], 0 offset:296 ; 4-byte Folded Reload
	v_add_f64 v[20:21], v[30:31], v[20:21]
	buffer_load_dword v30, off, s[64:67], 0 offset:348 ; 4-byte Folded Reload
	buffer_load_dword v31, off, s[64:67], 0 offset:352 ; 4-byte Folded Reload
	;; [unrolled: 3-line block ×3, first 2 shown]
	s_waitcnt vmcnt(8)
	v_add_f64 v[34:35], v[138:139], -v[34:35]
	s_waitcnt vmcnt(6)
	v_add_f64 v[40:41], v[40:41], v[136:137]
	s_waitcnt vmcnt(4)
	v_add_f64 v[36:37], v[134:135], -v[36:37]
	s_waitcnt vmcnt(2)
	v_add_f64 v[30:31], v[146:147], -v[30:31]
	v_add_f64 v[20:21], v[34:35], v[20:21]
	v_add_f64 v[22:23], v[40:41], v[22:23]
	buffer_load_dword v40, off, s[64:67], 0 offset:332 ; 4-byte Folded Reload
	buffer_load_dword v41, off, s[64:67], 0 offset:336 ; 4-byte Folded Reload
	;; [unrolled: 1-line block ×4, first 2 shown]
	v_add_f64 v[28:29], v[36:37], v[28:29]
	buffer_load_dword v36, off, s[64:67], 0 offset:388 ; 4-byte Folded Reload
	buffer_load_dword v37, off, s[64:67], 0 offset:392 ; 4-byte Folded Reload
	s_waitcnt vmcnt(6)
	v_add_f64 v[38:39], v[38:39], v[144:145]
	v_add_f64 v[20:21], v[30:31], v[20:21]
	;; [unrolled: 1-line block ×3, first 2 shown]
	buffer_load_dword v38, off, s[64:67], 0 offset:380 ; 4-byte Folded Reload
	buffer_load_dword v39, off, s[64:67], 0 offset:384 ; 4-byte Folded Reload
	;; [unrolled: 1-line block ×4, first 2 shown]
	s_waitcnt vmcnt(8)
	v_add_f64 v[40:41], v[142:143], -v[40:41]
	s_waitcnt vmcnt(6)
	v_add_f64 v[34:35], v[120:121], -v[34:35]
	s_waitcnt vmcnt(4)
	v_add_f64 v[36:37], v[36:37], v[150:151]
	v_add_f64 v[28:29], v[40:41], v[28:29]
	buffer_load_dword v40, off, s[64:67], 0 offset:436 ; 4-byte Folded Reload
	buffer_load_dword v41, off, s[64:67], 0 offset:440 ; 4-byte Folded Reload
	v_add_f64 v[20:21], v[34:35], v[20:21]
	v_add_f64 v[22:23], v[36:37], v[22:23]
	buffer_load_dword v36, off, s[64:67], 0 offset:428 ; 4-byte Folded Reload
	buffer_load_dword v37, off, s[64:67], 0 offset:432 ; 4-byte Folded Reload
	;; [unrolled: 1-line block ×4, first 2 shown]
	s_waitcnt vmcnt(8)
	v_add_f64 v[38:39], v[122:123], -v[38:39]
	s_waitcnt vmcnt(6)
	v_add_f64 v[30:31], v[130:131], -v[30:31]
	v_add_f64 v[28:29], v[38:39], v[28:29]
	v_add_f64 v[44:45], v[30:31], v[20:21]
	v_add_f64 v[31:32], v[12:13], v[64:65]
	v_add_f64 v[12:13], v[80:81], v[74:75]
	s_waitcnt vmcnt(4)
	v_add_f64 v[40:41], v[40:41], v[156:157]
	s_waitcnt vmcnt(2)
	v_add_f64 v[36:37], v[132:133], -v[36:37]
	s_waitcnt vmcnt(0)
	v_add_f64 v[38:39], v[140:141], -v[34:35]
	buffer_load_dword v34, off, s[64:67], 0 offset:476 ; 4-byte Folded Reload
	buffer_load_dword v35, off, s[64:67], 0 offset:480 ; 4-byte Folded Reload
	v_add_f64 v[40:41], v[40:41], v[22:23]
	buffer_load_dword v22, off, s[64:67], 0 offset:468 ; 4-byte Folded Reload
	buffer_load_dword v23, off, s[64:67], 0 offset:472 ; 4-byte Folded Reload
	;; [unrolled: 1-line block ×3, first 2 shown]
	v_add_f64 v[36:37], v[36:37], v[28:29]
	s_waitcnt vmcnt(3)
	v_add_f64 v[34:35], v[34:35], v[162:163]
	s_waitcnt vmcnt(1)
	v_add_f64 v[42:43], v[114:115], -v[22:23]
	v_add_f64 v[23:24], v[38:39], v[44:45]
	v_add_f64 v[21:22], v[18:19], v[84:85]
	;; [unrolled: 1-line block ×8, first 2 shown]
	s_waitcnt vmcnt(0)
	v_add_lshl_u32 v16, v176, v16, 4
	ds_write_b128 v16, v[31:34]
	ds_write_b128 v16, v[27:30] offset:16
	ds_write_b128 v16, v[23:26] offset:32
	;; [unrolled: 1-line block ×11, first 2 shown]
	buffer_load_dword v0, off, s[64:67], 0 offset:64 ; 4-byte Folded Reload
	buffer_load_dword v1, off, s[64:67], 0 offset:68 ; 4-byte Folded Reload
	buffer_load_dword v2, off, s[64:67], 0 offset:72 ; 4-byte Folded Reload
	buffer_load_dword v3, off, s[64:67], 0 offset:76 ; 4-byte Folded Reload
	s_waitcnt vmcnt(0)
	ds_write_b128 v16, v[0:3] offset:192
	buffer_load_dword v0, off, s[64:67], 0 offset:48 ; 4-byte Folded Reload
	buffer_load_dword v1, off, s[64:67], 0 offset:52 ; 4-byte Folded Reload
	buffer_load_dword v2, off, s[64:67], 0 offset:56 ; 4-byte Folded Reload
	buffer_load_dword v3, off, s[64:67], 0 offset:60 ; 4-byte Folded Reload
	s_waitcnt vmcnt(0)
	ds_write_b128 v16, v[0:3] offset:208
	;; [unrolled: 6-line block ×4, first 2 shown]
	buffer_load_dword v0, off, s[64:67], 0  ; 4-byte Folded Reload
	buffer_load_dword v1, off, s[64:67], 0 offset:4 ; 4-byte Folded Reload
	buffer_load_dword v2, off, s[64:67], 0 offset:8 ; 4-byte Folded Reload
	;; [unrolled: 1-line block ×3, first 2 shown]
	s_waitcnt vmcnt(0)
	ds_write_b128 v16, v[0:3] offset:256
.LBB0_7:
	s_or_b64 exec, exec, s[4:5]
	s_waitcnt vmcnt(0) lgkmcnt(0)
	s_barrier
	buffer_load_dword v187, off, s[64:67], 0 offset:92 ; 4-byte Folded Reload
	s_waitcnt vmcnt(0)
	v_add_lshl_u32 v255, v176, v187, 4
	ds_read_b128 v[52:55], v255
	ds_read_b128 v[56:59], v255 offset:816
	ds_read_b128 v[64:67], v255 offset:5984
	;; [unrolled: 1-line block ×8, first 2 shown]
	v_cmp_gt_u16_e64 s[2:3], 34, v187
	s_and_saveexec_b64 s[4:5], s[2:3]
	s_cbranch_execz .LBB0_9
; %bb.8:
	ds_read_b128 v[76:79], v255 offset:2448
	ds_read_b128 v[96:99], v255 offset:5440
	;; [unrolled: 1-line block ×3, first 2 shown]
.LBB0_9:
	s_or_b64 exec, exec, s[4:5]
	s_movk_i32 s4, 0xf1
	v_mul_lo_u16_sdwa v0, v187, s4 dst_sel:DWORD dst_unused:UNUSED_PAD src0_sel:BYTE_0 src1_sel:DWORD
	v_lshrrev_b16_e32 v28, 12, v0
	v_mul_lo_u16_e32 v0, 17, v28
	v_sub_u16_e32 v29, v187, v0
	v_add_u16_e32 v0, 51, v187
	v_mul_lo_u16_sdwa v1, v0, s4 dst_sel:DWORD dst_unused:UNUSED_PAD src0_sel:BYTE_0 src1_sel:DWORD
	v_lshrrev_b16_e32 v30, 12, v1
	v_mul_lo_u16_e32 v1, 17, v30
	v_sub_u16_e32 v31, v0, v1
	v_mov_b32_e32 v0, 5
	v_lshlrev_b32_sdwa v1, v0, v31 dst_sel:DWORD dst_unused:UNUSED_PAD src0_sel:DWORD src1_sel:BYTE_0
	global_load_dwordx4 v[43:46], v1, s[8:9] offset:16
	global_load_dwordx4 v[47:50], v1, s[8:9]
	v_add_u16_e32 v1, 0x66, v187
	v_mul_lo_u16_sdwa v2, v1, s4 dst_sel:DWORD dst_unused:UNUSED_PAD src0_sel:BYTE_0 src1_sel:DWORD
	v_lshrrev_b16_e32 v32, 12, v2
	v_mul_lo_u16_e32 v2, 17, v32
	v_sub_u16_e32 v33, v1, v2
	v_lshlrev_b32_sdwa v1, v0, v33 dst_sel:DWORD dst_unused:UNUSED_PAD src0_sel:DWORD src1_sel:BYTE_0
	global_load_dwordx4 v[104:107], v1, s[8:9] offset:16
	global_load_dwordx4 v[108:111], v1, s[8:9]
	v_add_u16_e32 v1, 0x99, v187
	v_mul_lo_u16_sdwa v2, v1, s4 dst_sel:DWORD dst_unused:UNUSED_PAD src0_sel:BYTE_0 src1_sel:DWORD
	v_lshrrev_b16_e32 v34, 12, v2
	v_mul_lo_u16_e32 v2, 17, v34
	v_sub_u16_e32 v1, v1, v2
	buffer_store_dword v1, off, s[64:67], 0 offset:100 ; 4-byte Folded Spill
	v_lshlrev_b32_sdwa v0, v0, v1 dst_sel:DWORD dst_unused:UNUSED_PAD src0_sel:DWORD src1_sel:BYTE_0
	global_load_dwordx4 v[35:38], v0, s[8:9] offset:16
	global_load_dwordx4 v[39:42], v0, s[8:9]
	v_lshlrev_b16_e32 v0, 1, v29
	v_and_b32_e32 v0, 0xfe, v0
	v_lshlrev_b32_e32 v0, 4, v0
	global_load_dwordx4 v[116:119], v0, s[8:9]
	global_load_dwordx4 v[112:115], v0, s[8:9] offset:16
	s_load_dwordx4 s[4:7], s[26:27], 0x0
	s_mov_b32 s10, 0xe8584caa
	s_mov_b32 s11, 0x3febb67a
	;; [unrolled: 1-line block ×4, first 2 shown]
	v_mul_u32_u24_e32 v249, 51, v34
	s_waitcnt vmcnt(8) lgkmcnt(0)
	v_mul_f64 v[4:5], v[74:75], v[45:46]
	s_waitcnt vmcnt(7)
	v_mul_f64 v[0:1], v[90:91], v[49:50]
	v_mul_f64 v[2:3], v[88:89], v[49:50]
	;; [unrolled: 1-line block ×3, first 2 shown]
	s_waitcnt vmcnt(6)
	v_mul_f64 v[12:13], v[82:83], v[106:107]
	s_waitcnt vmcnt(5)
	v_mul_f64 v[8:9], v[86:87], v[110:111]
	v_fma_f64 v[88:89], v[88:89], v[47:48], -v[0:1]
	buffer_store_dword v47, off, s[64:67], 0 offset:124 ; 4-byte Folded Spill
	s_nop 0
	buffer_store_dword v48, off, s[64:67], 0 offset:128 ; 4-byte Folded Spill
	buffer_store_dword v49, off, s[64:67], 0 offset:132 ; 4-byte Folded Spill
	;; [unrolled: 1-line block ×3, first 2 shown]
	v_fma_f64 v[72:73], v[72:73], v[43:44], -v[4:5]
	buffer_store_dword v43, off, s[64:67], 0 offset:108 ; 4-byte Folded Spill
	s_nop 0
	buffer_store_dword v44, off, s[64:67], 0 offset:112 ; 4-byte Folded Spill
	buffer_store_dword v45, off, s[64:67], 0 offset:116 ; 4-byte Folded Spill
	buffer_store_dword v46, off, s[64:67], 0 offset:120 ; 4-byte Folded Spill
	v_mul_f64 v[10:11], v[84:85], v[110:111]
	v_mul_f64 v[14:15], v[80:81], v[106:107]
	s_waitcnt vmcnt(11)
	v_mul_f64 v[20:21], v[94:95], v[37:38]
	s_waitcnt vmcnt(10)
	v_mul_f64 v[16:17], v[98:99], v[41:42]
	v_mul_f64 v[18:19], v[96:97], v[41:42]
	;; [unrolled: 1-line block ×3, first 2 shown]
	s_waitcnt vmcnt(9)
	v_mul_f64 v[24:25], v[70:71], v[118:119]
	s_waitcnt vmcnt(8)
	v_mul_f64 v[100:101], v[66:67], v[114:115]
	v_mul_f64 v[26:27], v[68:69], v[118:119]
	;; [unrolled: 1-line block ×3, first 2 shown]
	v_fma_f64 v[8:9], v[84:85], v[108:109], -v[8:9]
	buffer_store_dword v108, off, s[64:67], 0 offset:156 ; 4-byte Folded Spill
	s_nop 0
	buffer_store_dword v109, off, s[64:67], 0 offset:160 ; 4-byte Folded Spill
	buffer_store_dword v110, off, s[64:67], 0 offset:164 ; 4-byte Folded Spill
	;; [unrolled: 1-line block ×3, first 2 shown]
	v_fma_f64 v[80:81], v[80:81], v[104:105], -v[12:13]
	buffer_store_dword v104, off, s[64:67], 0 offset:140 ; 4-byte Folded Spill
	s_nop 0
	buffer_store_dword v105, off, s[64:67], 0 offset:144 ; 4-byte Folded Spill
	buffer_store_dword v106, off, s[64:67], 0 offset:148 ; 4-byte Folded Spill
	;; [unrolled: 1-line block ×3, first 2 shown]
	v_fma_f64 v[0:1], v[92:93], v[35:36], -v[20:21]
	v_fma_f64 v[64:65], v[64:65], v[112:113], -v[100:101]
	v_add_f64 v[20:21], v[56:57], v[88:89]
	v_add_f64 v[84:85], v[8:9], v[80:81]
	v_fma_f64 v[90:91], v[90:91], v[47:48], v[2:3]
	v_fma_f64 v[2:3], v[96:97], v[39:40], -v[16:17]
	buffer_store_dword v39, off, s[64:67], 0 offset:252 ; 4-byte Folded Spill
	s_nop 0
	buffer_store_dword v40, off, s[64:67], 0 offset:256 ; 4-byte Folded Spill
	buffer_store_dword v41, off, s[64:67], 0 offset:260 ; 4-byte Folded Spill
	;; [unrolled: 1-line block ×4, first 2 shown]
	s_nop 0
	buffer_store_dword v36, off, s[64:67], 0 offset:240 ; 4-byte Folded Spill
	buffer_store_dword v37, off, s[64:67], 0 offset:244 ; 4-byte Folded Spill
	;; [unrolled: 1-line block ×3, first 2 shown]
	v_fma_f64 v[16:17], v[68:69], v[116:117], -v[24:25]
	buffer_store_dword v116, off, s[64:67], 0 offset:188 ; 4-byte Folded Spill
	s_nop 0
	buffer_store_dword v117, off, s[64:67], 0 offset:192 ; 4-byte Folded Spill
	buffer_store_dword v118, off, s[64:67], 0 offset:196 ; 4-byte Folded Spill
	;; [unrolled: 1-line block ×4, first 2 shown]
	s_nop 0
	buffer_store_dword v113, off, s[64:67], 0 offset:176 ; 4-byte Folded Spill
	buffer_store_dword v114, off, s[64:67], 0 offset:180 ; 4-byte Folded Spill
	;; [unrolled: 1-line block ×3, first 2 shown]
	v_fma_f64 v[74:75], v[74:75], v[43:44], v[6:7]
	v_add_f64 v[24:25], v[58:59], v[90:91]
	v_add_f64 v[92:93], v[2:3], v[0:1]
	v_add_f64 v[12:13], v[2:3], -v[0:1]
	v_add_f64 v[96:97], v[52:53], v[16:17]
	s_waitcnt vmcnt(0)
	s_barrier
	v_fma_f64 v[10:11], v[86:87], v[108:109], v[10:11]
	v_add_f64 v[68:69], v[90:91], -v[74:75]
	v_fma_f64 v[14:15], v[82:83], v[104:105], v[14:15]
	v_add_f64 v[82:83], v[60:61], v[8:9]
	v_add_f64 v[86:87], v[10:11], -v[14:15]
	v_fma_f64 v[6:7], v[98:99], v[39:40], v[18:19]
	v_fma_f64 v[4:5], v[94:95], v[35:36], v[22:23]
	v_add_f64 v[22:23], v[88:89], v[72:73]
	v_fma_f64 v[18:19], v[70:71], v[116:117], v[26:27]
	v_fma_f64 v[66:67], v[66:67], v[112:113], v[102:103]
	v_add_f64 v[26:27], v[90:91], v[74:75]
	v_add_f64 v[70:71], v[88:89], -v[72:73]
	v_add_f64 v[88:89], v[62:63], v[10:11]
	v_add_f64 v[98:99], v[16:17], v[64:65]
	;; [unrolled: 1-line block ×6, first 2 shown]
	v_add_f64 v[100:101], v[18:19], -v[66:67]
	v_add_f64 v[19:20], v[20:21], v[72:73]
	v_fma_f64 v[72:73], v[22:23], -0.5, v[56:57]
	v_add_f64 v[21:22], v[24:25], v[74:75]
	v_fma_f64 v[74:75], v[26:27], -0.5, v[58:59]
	v_add_f64 v[90:91], v[8:9], -v[80:81]
	v_add_f64 v[16:17], v[16:17], -v[64:65]
	v_add_f64 v[23:24], v[82:83], v[80:81]
	v_fma_f64 v[80:81], v[84:85], -0.5, v[60:61]
	v_add_f64 v[25:26], v[88:89], v[14:15]
	v_fma_f64 v[84:85], v[98:99], -0.5, v[52:53]
	v_fma_f64 v[88:89], v[104:105], -0.5, v[54:55]
	;; [unrolled: 1-line block ×3, first 2 shown]
	v_add_f64 v[8:9], v[6:7], -v[4:5]
	v_fma_f64 v[10:11], v[92:93], -0.5, v[76:77]
	v_fma_f64 v[14:15], v[94:95], -0.5, v[78:79]
	v_add_f64 v[56:57], v[96:97], v[64:65]
	v_add_f64 v[58:59], v[102:103], v[66:67]
	v_fma_f64 v[60:61], v[68:69], s[16:17], v[72:73]
	v_fma_f64 v[62:63], v[70:71], s[10:11], v[74:75]
	;; [unrolled: 1-line block ×14, first 2 shown]
	v_mad_legacy_u16 v16, v28, 51, v29
	v_and_b32_e32 v16, 0xff, v16
	v_add_lshl_u32 v250, v176, v16, 4
	v_mul_u32_u24_e32 v16, 51, v30
	v_add_u32_sdwa v16, v16, v31 dst_sel:DWORD dst_unused:UNUSED_PAD src0_sel:DWORD src1_sel:BYTE_0
	v_add_lshl_u32 v16, v176, v16, 4
	ds_write_b128 v250, v[56:59]
	ds_write_b128 v250, v[72:75] offset:272
	ds_write_b128 v250, v[80:83] offset:544
	ds_write_b128 v16, v[19:22]
	ds_write_b128 v16, v[52:55] offset:272
	buffer_store_dword v16, off, s[64:67], 0 offset:220 ; 4-byte Folded Spill
	ds_write_b128 v16, v[60:63] offset:544
	v_mul_u32_u24_e32 v16, 51, v32
	v_add_u32_sdwa v16, v16, v33 dst_sel:DWORD dst_unused:UNUSED_PAD src0_sel:DWORD src1_sel:BYTE_0
	v_add_lshl_u32 v16, v176, v16, 4
	ds_write_b128 v16, v[23:26]
	ds_write_b128 v16, v[64:67] offset:272
	buffer_store_dword v16, off, s[64:67], 0 offset:228 ; 4-byte Folded Spill
	ds_write_b128 v16, v[68:71] offset:544
	s_mov_b64 s[16:17], exec
	buffer_load_dword v34, off, s[64:67], 0 ; 4-byte Folded Reload
	buffer_load_dword v35, off, s[64:67], 0 offset:4 ; 4-byte Folded Reload
	buffer_load_dword v36, off, s[64:67], 0 offset:8 ; 4-byte Folded Reload
	;; [unrolled: 1-line block ×19, first 2 shown]
	s_and_b64 s[18:19], s[16:17], s[2:3]
	s_mov_b64 exec, s[18:19]
	s_cbranch_execz .LBB0_11
; %bb.10:
	v_add_f64 v[6:7], v[78:79], v[6:7]
	v_add_f64 v[16:17], v[76:77], v[2:3]
	v_mul_f64 v[8:9], v[8:9], s[10:11]
	v_mul_f64 v[12:13], v[12:13], s[10:11]
	v_add_f64 v[6:7], v[6:7], v[4:5]
	v_add_f64 v[4:5], v[16:17], v[0:1]
	;; [unrolled: 1-line block ×3, first 2 shown]
	buffer_load_dword v8, off, s[64:67], 0 offset:100 ; 4-byte Folded Reload
	v_add_f64 v[2:3], v[14:15], -v[12:13]
	s_waitcnt vmcnt(0)
	v_add_u32_sdwa v8, v249, v8 dst_sel:DWORD dst_unused:UNUSED_PAD src0_sel:DWORD src1_sel:BYTE_0
	v_add_lshl_u32 v8, v176, v8, 4
	ds_write_b128 v8, v[4:7]
	ds_write_b128 v8, v[0:3] offset:272
	ds_write_b128 v8, v[92:95] offset:544
.LBB0_11:
	s_or_b64 exec, exec, s[16:17]
	v_mov_b32_e32 v0, s8
	s_movk_i32 s10, 0xa0
	v_mov_b32_e32 v1, s9
	v_mad_u64_u32 v[0:1], s[8:9], v187, s10, v[0:1]
	s_waitcnt vmcnt(0) lgkmcnt(0)
	s_barrier
	global_load_dwordx4 v[88:91], v[0:1], off offset:544
	global_load_dwordx4 v[80:83], v[0:1], off offset:560
	;; [unrolled: 1-line block ×10, first 2 shown]
	ds_read_b128 v[0:3], v255
	ds_read_b128 v[4:7], v255 offset:816
	ds_read_b128 v[8:11], v255 offset:1632
	;; [unrolled: 1-line block ×10, first 2 shown]
	s_mov_b32 s28, 0xf8bb580b
	s_mov_b32 s29, 0xbfe14ced
	;; [unrolled: 1-line block ×26, first 2 shown]
	s_waitcnt vmcnt(9) lgkmcnt(9)
	v_mul_f64 v[112:113], v[6:7], v[90:91]
	v_mul_f64 v[114:115], v[4:5], v[90:91]
	s_waitcnt vmcnt(8) lgkmcnt(8)
	v_mul_f64 v[116:117], v[10:11], v[82:83]
	v_mul_f64 v[118:119], v[8:9], v[82:83]
	;; [unrolled: 3-line block ×3, first 2 shown]
	s_waitcnt vmcnt(3) lgkmcnt(3)
	v_mul_f64 v[136:137], v[98:99], v[62:63]
	s_waitcnt vmcnt(2) lgkmcnt(2)
	v_mul_f64 v[140:141], v[102:103], v[52:53]
	v_mul_f64 v[142:143], v[100:101], v[52:53]
	;; [unrolled: 1-line block ×3, first 2 shown]
	s_waitcnt vmcnt(1) lgkmcnt(1)
	v_mul_f64 v[144:145], v[106:107], v[74:75]
	v_mul_f64 v[146:147], v[104:105], v[74:75]
	s_waitcnt vmcnt(0) lgkmcnt(0)
	v_mul_f64 v[148:149], v[110:111], v[78:79]
	v_mul_f64 v[150:151], v[108:109], v[78:79]
	v_fma_f64 v[4:5], v[4:5], v[88:89], -v[112:113]
	v_fma_f64 v[100:101], v[100:101], v[50:51], -v[140:141]
	buffer_store_dword v50, off, s[64:67], 0 offset:204 ; 4-byte Folded Spill
	s_nop 0
	buffer_store_dword v51, off, s[64:67], 0 offset:208 ; 4-byte Folded Spill
	buffer_store_dword v52, off, s[64:67], 0 offset:212 ; 4-byte Folded Spill
	;; [unrolled: 1-line block ×3, first 2 shown]
	v_fma_f64 v[6:7], v[6:7], v[88:89], v[114:115]
	v_mul_f64 v[124:125], v[18:19], v[58:59]
	v_mul_f64 v[126:127], v[16:17], v[58:59]
	v_fma_f64 v[8:9], v[8:9], v[80:81], -v[116:117]
	v_fma_f64 v[10:11], v[10:11], v[80:81], v[118:119]
	v_fma_f64 v[112:113], v[96:97], v[60:61], -v[136:137]
	v_fma_f64 v[114:115], v[98:99], v[60:61], v[138:139]
	;; [unrolled: 2-line block ×4, first 2 shown]
	v_add_f64 v[108:109], v[0:1], v[4:5]
	v_add_f64 v[110:111], v[2:3], v[6:7]
	v_fma_f64 v[12:13], v[12:13], v[64:65], -v[120:121]
	v_fma_f64 v[14:15], v[14:15], v[64:65], v[122:123]
	v_fma_f64 v[16:17], v[16:17], v[56:57], -v[124:125]
	v_fma_f64 v[18:19], v[18:19], v[56:57], v[126:127]
	v_add_f64 v[120:121], v[8:9], v[104:105]
	v_add_f64 v[122:123], v[10:11], v[106:107]
	v_add_f64 v[124:125], v[8:9], -v[104:105]
	v_add_f64 v[126:127], v[10:11], -v[106:107]
	v_add_f64 v[8:9], v[108:109], v[8:9]
	v_add_f64 v[10:11], v[110:111], v[10:11]
	v_mul_f64 v[128:129], v[22:23], v[86:87]
	v_mul_f64 v[130:131], v[20:21], v[86:87]
	;; [unrolled: 1-line block ×4, first 2 shown]
	v_add_f64 v[116:117], v[4:5], v[96:97]
	v_add_f64 v[4:5], v[4:5], -v[96:97]
	v_add_f64 v[8:9], v[8:9], v[12:13]
	v_add_f64 v[10:11], v[10:11], v[14:15]
	v_fma_f64 v[20:21], v[20:21], v[84:85], -v[128:129]
	v_fma_f64 v[22:23], v[22:23], v[84:85], v[130:131]
	v_fma_f64 v[24:25], v[24:25], v[68:69], -v[132:133]
	v_fma_f64 v[26:27], v[26:27], v[68:69], v[134:135]
	v_add_f64 v[118:119], v[6:7], v[98:99]
	v_add_f64 v[6:7], v[6:7], -v[98:99]
	v_add_f64 v[8:9], v[8:9], v[16:17]
	v_add_f64 v[10:11], v[10:11], v[18:19]
	v_mul_f64 v[110:111], v[4:5], s[28:29]
	v_mul_f64 v[130:131], v[4:5], s[18:19]
	;; [unrolled: 1-line block ×6, first 2 shown]
	v_add_f64 v[8:9], v[8:9], v[20:21]
	v_add_f64 v[10:11], v[10:11], v[22:23]
	v_mul_f64 v[128:129], v[6:7], s[18:19]
	v_mul_f64 v[132:133], v[6:7], s[16:17]
	;; [unrolled: 1-line block ×4, first 2 shown]
	v_fma_f64 v[150:151], v[118:119], s[20:21], v[110:111]
	v_mul_f64 v[140:141], v[126:127], s[18:19]
	v_add_f64 v[8:9], v[8:9], v[24:25]
	v_add_f64 v[10:11], v[10:11], v[26:27]
	v_mul_f64 v[144:145], v[126:127], s[24:25]
	v_fma_f64 v[148:149], v[116:117], s[20:21], -v[108:109]
	v_fma_f64 v[108:109], v[116:117], s[20:21], v[108:109]
	v_fma_f64 v[110:111], v[118:119], s[20:21], -v[110:111]
	v_fma_f64 v[152:153], v[116:117], s[8:9], -v[128:129]
	v_fma_f64 v[154:155], v[118:119], s[8:9], v[130:131]
	v_add_f64 v[8:9], v[8:9], v[112:113]
	v_add_f64 v[10:11], v[10:11], v[114:115]
	v_fma_f64 v[128:129], v[116:117], s[8:9], v[128:129]
	v_fma_f64 v[130:131], v[118:119], s[8:9], -v[130:131]
	v_fma_f64 v[156:157], v[116:117], s[10:11], -v[132:133]
	v_fma_f64 v[158:159], v[118:119], s[10:11], v[134:135]
	v_fma_f64 v[132:133], v[116:117], s[10:11], v[132:133]
	v_fma_f64 v[134:135], v[118:119], s[10:11], -v[134:135]
	v_fma_f64 v[160:161], v[116:117], s[22:23], -v[136:137]
	v_fma_f64 v[162:163], v[118:119], s[22:23], v[138:139]
	;; [unrolled: 4-line block ×3, first 2 shown]
	v_fma_f64 v[6:7], v[116:117], s[26:27], v[6:7]
	v_fma_f64 v[102:103], v[102:103], v[50:51], v[142:143]
	v_mul_f64 v[142:143], v[124:125], s[18:19]
	v_fma_f64 v[4:5], v[118:119], s[26:27], -v[4:5]
	v_add_f64 v[150:151], v[2:3], v[150:151]
	v_add_f64 v[8:9], v[8:9], v[100:101]
	v_fma_f64 v[116:117], v[120:121], s[8:9], -v[140:141]
	v_fma_f64 v[140:141], v[120:121], s[8:9], v[140:141]
	v_fma_f64 v[168:169], v[120:121], s[22:23], -v[144:145]
	v_add_f64 v[10:11], v[10:11], v[102:103]
	v_fma_f64 v[118:119], v[122:123], s[8:9], v[142:143]
	v_add_f64 v[148:149], v[0:1], v[148:149]
	v_add_f64 v[108:109], v[0:1], v[108:109]
	;; [unrolled: 1-line block ×14, first 2 shown]
	v_mul_f64 v[118:119], v[124:125], s[38:39]
	v_mul_f64 v[146:147], v[124:125], s[24:25]
	v_fma_f64 v[142:143], v[122:123], s[8:9], -v[142:143]
	v_add_f64 v[110:111], v[2:3], v[110:111]
	v_add_f64 v[154:155], v[2:3], v[154:155]
	;; [unrolled: 1-line block ×12, first 2 shown]
	v_mul_f64 v[116:117], v[126:127], s[38:39]
	v_mul_f64 v[140:141], v[126:127], s[36:37]
	v_fma_f64 v[148:149], v[122:123], s[26:27], v[118:119]
	v_fma_f64 v[118:119], v[122:123], s[26:27], -v[118:119]
	v_mul_f64 v[152:153], v[124:125], s[36:37]
	v_add_f64 v[98:99], v[10:11], v[98:99]
	v_add_f64 v[10:11], v[142:143], v[110:111]
	v_fma_f64 v[110:111], v[122:123], s[22:23], v[146:147]
	v_fma_f64 v[142:143], v[120:121], s[22:23], v[144:145]
	v_fma_f64 v[144:145], v[122:123], s[22:23], -v[146:147]
	v_fma_f64 v[146:147], v[120:121], s[26:27], -v[116:117]
	;; [unrolled: 1-line block ×3, first 2 shown]
	v_add_f64 v[118:119], v[118:119], v[134:135]
	v_fma_f64 v[134:135], v[122:123], s[10:11], v[152:153]
	v_fma_f64 v[140:141], v[120:121], s[10:11], v[140:141]
	v_mul_f64 v[126:127], v[126:127], s[34:35]
	v_fma_f64 v[116:117], v[120:121], s[26:27], v[116:117]
	v_add_f64 v[128:129], v[142:143], v[128:129]
	v_add_f64 v[130:131], v[144:145], v[130:131]
	;; [unrolled: 1-line block ×4, first 2 shown]
	v_add_f64 v[146:147], v[14:15], -v[102:103]
	v_mul_f64 v[124:125], v[124:125], s[34:35]
	v_fma_f64 v[148:149], v[122:123], s[10:11], -v[152:153]
	v_add_f64 v[104:105], v[134:135], v[104:105]
	v_add_f64 v[134:135], v[12:13], -v[100:101]
	v_add_f64 v[106:107], v[140:141], v[106:107]
	v_fma_f64 v[140:141], v[120:121], s[20:21], -v[126:127]
	v_add_f64 v[116:117], v[116:117], v[132:133]
	v_add_f64 v[132:133], v[150:151], v[160:161]
	;; [unrolled: 1-line block ×3, first 2 shown]
	v_mul_f64 v[100:101], v[146:147], s[16:17]
	v_fma_f64 v[150:151], v[122:123], s[20:21], v[124:125]
	v_add_f64 v[136:137], v[148:149], v[136:137]
	v_add_f64 v[14:15], v[14:15], v[102:103]
	v_mul_f64 v[102:103], v[134:135], s[16:17]
	v_fma_f64 v[120:121], v[120:121], s[20:21], v[126:127]
	v_fma_f64 v[122:123], v[122:123], s[20:21], -v[124:125]
	v_add_f64 v[126:127], v[140:141], v[138:139]
	v_mul_f64 v[140:141], v[146:147], s[38:39]
	v_mul_f64 v[148:149], v[134:135], s[38:39]
	v_add_f64 v[110:111], v[110:111], v[154:155]
	v_fma_f64 v[124:125], v[12:13], s[10:11], -v[100:101]
	v_add_f64 v[138:139], v[150:151], v[162:163]
	v_fma_f64 v[150:151], v[14:15], s[10:11], v[102:103]
	v_add_f64 v[0:1], v[120:121], v[0:1]
	v_add_f64 v[2:3], v[122:123], v[2:3]
	v_fma_f64 v[100:101], v[12:13], s[10:11], v[100:101]
	v_fma_f64 v[102:103], v[14:15], s[10:11], -v[102:103]
	v_fma_f64 v[120:121], v[12:13], s[26:27], -v[140:141]
	v_fma_f64 v[122:123], v[14:15], s[26:27], v[148:149]
	s_mov_b32 s19, 0x3fed1bb4
	v_add_f64 v[4:5], v[124:125], v[4:5]
	v_mul_f64 v[124:125], v[146:147], s[18:19]
	v_add_f64 v[6:7], v[150:151], v[6:7]
	v_add_f64 v[8:9], v[100:101], v[8:9]
	;; [unrolled: 1-line block ×5, first 2 shown]
	v_fma_f64 v[108:109], v[12:13], s[26:27], v[140:141]
	v_fma_f64 v[110:111], v[14:15], s[26:27], -v[148:149]
	v_mul_f64 v[140:141], v[146:147], s[28:29]
	v_mul_f64 v[148:149], v[134:135], s[28:29]
	;; [unrolled: 1-line block ×3, first 2 shown]
	v_fma_f64 v[120:121], v[12:13], s[8:9], -v[124:125]
	v_fma_f64 v[124:125], v[12:13], s[8:9], v[124:125]
	v_mul_f64 v[134:135], v[134:135], s[24:25]
	v_add_f64 v[108:109], v[108:109], v[128:129]
	v_add_f64 v[110:111], v[110:111], v[130:131]
	v_fma_f64 v[128:129], v[12:13], s[20:21], -v[140:141]
	v_fma_f64 v[130:131], v[14:15], s[20:21], v[148:149]
	v_fma_f64 v[122:123], v[14:15], s[8:9], v[150:151]
	v_fma_f64 v[150:151], v[14:15], s[8:9], -v[150:151]
	v_add_f64 v[116:117], v[124:125], v[116:117]
	v_mul_f64 v[124:125], v[146:147], s[24:25]
	v_add_f64 v[120:121], v[120:121], v[142:143]
	v_fma_f64 v[140:141], v[12:13], s[20:21], v[140:141]
	v_add_f64 v[128:129], v[128:129], v[132:133]
	v_add_f64 v[104:105], v[130:131], v[104:105]
	v_add_f64 v[130:131], v[18:19], -v[114:115]
	v_add_f64 v[132:133], v[16:17], -v[112:113]
	v_add_f64 v[122:123], v[122:123], v[144:145]
	v_fma_f64 v[142:143], v[14:15], s[20:21], -v[148:149]
	v_fma_f64 v[144:145], v[12:13], s[22:23], -v[124:125]
	v_fma_f64 v[146:147], v[14:15], s[22:23], v[134:135]
	v_add_f64 v[16:17], v[16:17], v[112:113]
	v_add_f64 v[18:19], v[18:19], v[114:115]
	v_fma_f64 v[12:13], v[12:13], s[22:23], v[124:125]
	v_fma_f64 v[14:15], v[14:15], s[22:23], -v[134:135]
	v_mul_f64 v[124:125], v[130:131], s[36:37]
	v_mul_f64 v[134:135], v[132:133], s[36:37]
	;; [unrolled: 1-line block ×3, first 2 shown]
	v_add_f64 v[126:127], v[144:145], v[126:127]
	v_add_f64 v[138:139], v[146:147], v[138:139]
	;; [unrolled: 1-line block ×5, first 2 shown]
	v_fma_f64 v[12:13], v[16:17], s[10:11], -v[124:125]
	v_fma_f64 v[14:15], v[18:19], s[10:11], v[134:135]
	v_mul_f64 v[114:115], v[132:133], s[24:25]
	v_fma_f64 v[140:141], v[16:17], s[22:23], -v[112:113]
	v_fma_f64 v[112:113], v[16:17], s[22:23], v[112:113]
	v_add_f64 v[136:137], v[142:143], v[136:137]
	v_fma_f64 v[124:125], v[16:17], s[10:11], v[124:125]
	v_add_f64 v[148:149], v[20:21], -v[24:25]
	v_add_f64 v[12:13], v[12:13], v[100:101]
	v_add_f64 v[14:15], v[14:15], v[102:103]
	v_mul_f64 v[100:101], v[130:131], s[30:31]
	v_mul_f64 v[102:103], v[132:133], s[30:31]
	v_fma_f64 v[142:143], v[18:19], s[22:23], v[114:115]
	v_fma_f64 v[114:115], v[18:19], s[22:23], -v[114:115]
	v_add_f64 v[8:9], v[112:113], v[8:9]
	v_mul_f64 v[112:113], v[130:131], s[28:29]
	v_add_f64 v[20:21], v[20:21], v[24:25]
	v_add_f64 v[4:5], v[140:141], v[4:5]
	v_fma_f64 v[144:145], v[16:17], s[26:27], -v[100:101]
	v_fma_f64 v[146:147], v[18:19], s[26:27], v[102:103]
	v_fma_f64 v[100:101], v[16:17], s[26:27], v[100:101]
	v_add_f64 v[10:11], v[114:115], v[10:11]
	v_mul_f64 v[114:115], v[132:133], s[28:29]
	v_fma_f64 v[140:141], v[16:17], s[20:21], -v[112:113]
	v_fma_f64 v[112:113], v[16:17], s[20:21], v[112:113]
	v_add_f64 v[124:125], v[124:125], v[108:109]
	v_add_f64 v[128:129], v[144:145], v[128:129]
	;; [unrolled: 1-line block ×3, first 2 shown]
	v_add_f64 v[146:147], v[22:23], -v[26:27]
	v_mul_f64 v[104:105], v[130:131], s[18:19]
	v_mul_f64 v[108:109], v[132:133], s[18:19]
	v_fma_f64 v[102:103], v[18:19], s[26:27], -v[102:103]
	v_add_f64 v[22:23], v[22:23], v[26:27]
	v_mul_f64 v[26:27], v[148:149], s[30:31]
	v_add_f64 v[130:131], v[100:101], v[106:107]
	v_add_f64 v[6:7], v[142:143], v[6:7]
	v_mul_f64 v[24:25], v[146:147], s[30:31]
	v_fma_f64 v[134:135], v[18:19], s[10:11], -v[134:135]
	v_fma_f64 v[142:143], v[18:19], s[20:21], v[114:115]
	v_fma_f64 v[114:115], v[18:19], s[20:21], -v[114:115]
	v_add_f64 v[120:121], v[140:141], v[120:121]
	v_add_f64 v[140:141], v[112:113], v[116:117]
	v_fma_f64 v[112:113], v[18:19], s[8:9], v[108:109]
	v_add_f64 v[136:137], v[102:103], v[136:137]
	v_fma_f64 v[100:101], v[20:21], s[26:27], -v[24:25]
	v_fma_f64 v[18:19], v[18:19], s[8:9], -v[108:109]
	v_fma_f64 v[102:103], v[22:23], s[26:27], v[26:27]
	v_mul_f64 v[106:107], v[148:149], s[34:35]
	v_add_f64 v[118:119], v[150:151], v[118:119]
	v_add_f64 v[134:135], v[134:135], v[110:111]
	v_fma_f64 v[110:111], v[16:17], s[8:9], -v[104:105]
	v_fma_f64 v[16:17], v[16:17], s[8:9], v[104:105]
	v_add_f64 v[100:101], v[100:101], v[4:5]
	v_fma_f64 v[4:5], v[20:21], s[26:27], v[24:25]
	v_mul_f64 v[24:25], v[146:147], s[24:25]
	v_mul_f64 v[104:105], v[146:147], s[34:35]
	v_add_f64 v[2:3], v[18:19], v[2:3]
	v_add_f64 v[102:103], v[102:103], v[6:7]
	v_fma_f64 v[6:7], v[22:23], s[26:27], -v[26:27]
	v_fma_f64 v[18:19], v[22:23], s[20:21], v[106:107]
	v_mul_f64 v[26:27], v[148:149], s[24:25]
	v_add_f64 v[108:109], v[4:5], v[8:9]
	v_fma_f64 v[4:5], v[20:21], s[22:23], -v[24:25]
	v_add_f64 v[122:123], v[142:143], v[122:123]
	v_add_f64 v[142:143], v[114:115], v[118:119]
	;; [unrolled: 1-line block ×4, first 2 shown]
	v_fma_f64 v[16:17], v[20:21], s[20:21], -v[104:105]
	v_fma_f64 v[114:115], v[22:23], s[20:21], -v[106:107]
	v_add_f64 v[110:111], v[6:7], v[10:11]
	v_add_f64 v[106:107], v[18:19], v[14:15]
	v_fma_f64 v[6:7], v[22:23], s[22:23], v[26:27]
	v_fma_f64 v[10:11], v[22:23], s[22:23], -v[26:27]
	v_mul_f64 v[14:15], v[148:149], s[18:19]
	v_add_f64 v[116:117], v[4:5], v[120:121]
	v_mul_f64 v[4:5], v[146:147], s[16:17]
	v_add_f64 v[138:139], v[112:113], v[138:139]
	v_fma_f64 v[112:113], v[20:21], s[20:21], v[104:105]
	v_add_f64 v[104:105], v[16:17], v[12:13]
	v_add_f64 v[118:119], v[6:7], v[122:123]
	;; [unrolled: 1-line block ×3, first 2 shown]
	v_fma_f64 v[10:11], v[22:23], s[8:9], v[14:15]
	v_fma_f64 v[14:15], v[22:23], s[8:9], -v[14:15]
	v_fma_f64 v[16:17], v[20:21], s[10:11], -v[4:5]
	v_fma_f64 v[4:5], v[20:21], s[10:11], v[4:5]
	v_add_f64 v[114:115], v[114:115], v[134:135]
	v_fma_f64 v[8:9], v[20:21], s[22:23], v[24:25]
	v_mul_f64 v[12:13], v[146:147], s[18:19]
	v_mul_f64 v[6:7], v[148:149], s[16:17]
	v_add_f64 v[112:113], v[112:113], v[124:125]
	v_add_f64 v[134:135], v[14:15], v[136:137]
	;; [unrolled: 1-line block ×4, first 2 shown]
	buffer_load_dword v0, off, s[64:67], 0 offset:80 ; 4-byte Folded Reload
	v_add_f64 v[120:121], v[8:9], v[140:141]
	v_fma_f64 v[8:9], v[20:21], s[8:9], -v[12:13]
	v_fma_f64 v[12:13], v[20:21], s[8:9], v[12:13]
	v_fma_f64 v[18:19], v[22:23], s[10:11], v[6:7]
	v_fma_f64 v[6:7], v[22:23], s[10:11], -v[6:7]
	v_add_f64 v[124:125], v[8:9], v[128:129]
	v_add_f64 v[132:133], v[12:13], v[130:131]
	;; [unrolled: 1-line block ×5, first 2 shown]
	s_waitcnt vmcnt(0)
	v_lshl_add_u32 v176, v187, 4, v0
	ds_write_b128 v176, v[96:99]
	ds_write_b128 v176, v[100:103] offset:816
	ds_write_b128 v176, v[104:107] offset:1632
	;; [unrolled: 1-line block ×10, first 2 shown]
	s_waitcnt lgkmcnt(0)
	s_barrier
	s_and_saveexec_b64 s[8:9], s[0:1]
	s_cbranch_execz .LBB0_13
; %bb.12:
	v_lshlrev_b32_e32 v0, 4, v187
	v_add_co_u32_e32 v0, vcc, s12, v0
	v_mov_b32_e32 v1, s13
	v_addc_co_u32_e32 v1, vcc, 0, v1, vcc
	v_add_co_u32_e32 v14, vcc, 0x2310, v0
	v_addc_co_u32_e32 v15, vcc, 0, v1, vcc
	v_add_co_u32_e32 v6, vcc, 0x2000, v0
	v_addc_co_u32_e32 v7, vcc, 0, v1, vcc
	global_load_dwordx4 v[6:9], v[6:7], off offset:784
	ds_read_b128 v[2:5], v176
	s_movk_i32 s10, 0x3000
	s_waitcnt vmcnt(0) lgkmcnt(0)
	v_mul_f64 v[10:11], v[4:5], v[8:9]
	v_fma_f64 v[10:11], v[2:3], v[6:7], -v[10:11]
	v_mul_f64 v[2:3], v[2:3], v[8:9]
	v_fma_f64 v[12:13], v[4:5], v[6:7], v[2:3]
	global_load_dwordx4 v[6:9], v[14:15], off offset:528
	ds_read_b128 v[2:5], v176 offset:528
	ds_write_b128 v176, v[10:13]
	s_waitcnt vmcnt(0) lgkmcnt(1)
	v_mul_f64 v[10:11], v[4:5], v[8:9]
	v_fma_f64 v[10:11], v[2:3], v[6:7], -v[10:11]
	v_mul_f64 v[2:3], v[2:3], v[8:9]
	v_fma_f64 v[12:13], v[4:5], v[6:7], v[2:3]
	global_load_dwordx4 v[6:9], v[14:15], off offset:1056
	ds_read_b128 v[2:5], v176 offset:1056
	ds_write_b128 v176, v[10:13] offset:528
	s_waitcnt vmcnt(0) lgkmcnt(1)
	v_mul_f64 v[10:11], v[4:5], v[8:9]
	v_fma_f64 v[10:11], v[2:3], v[6:7], -v[10:11]
	v_mul_f64 v[2:3], v[2:3], v[8:9]
	v_fma_f64 v[12:13], v[4:5], v[6:7], v[2:3]
	global_load_dwordx4 v[6:9], v[14:15], off offset:1584
	ds_read_b128 v[2:5], v176 offset:1584
	ds_write_b128 v176, v[10:13] offset:1056
	;; [unrolled: 8-line block ×5, first 2 shown]
	s_waitcnt vmcnt(0) lgkmcnt(1)
	v_mul_f64 v[10:11], v[4:5], v[8:9]
	v_fma_f64 v[10:11], v[2:3], v[6:7], -v[10:11]
	v_mul_f64 v[2:3], v[2:3], v[8:9]
	v_fma_f64 v[12:13], v[4:5], v[6:7], v[2:3]
	global_load_dwordx4 v[6:9], v[14:15], off offset:3696
	ds_read_b128 v[2:5], v176 offset:3696
	v_add_co_u32_e32 v14, vcc, s10, v0
	v_addc_co_u32_e32 v15, vcc, 0, v1, vcc
	s_movk_i32 s10, 0x4000
	ds_write_b128 v176, v[10:13] offset:3168
	s_waitcnt vmcnt(0) lgkmcnt(1)
	v_mul_f64 v[10:11], v[4:5], v[8:9]
	v_fma_f64 v[10:11], v[2:3], v[6:7], -v[10:11]
	v_mul_f64 v[2:3], v[2:3], v[8:9]
	v_fma_f64 v[12:13], v[4:5], v[6:7], v[2:3]
	global_load_dwordx4 v[6:9], v[14:15], off offset:912
	ds_read_b128 v[2:5], v176 offset:4224
	ds_write_b128 v176, v[10:13] offset:3696
	s_waitcnt vmcnt(0) lgkmcnt(1)
	v_mul_f64 v[10:11], v[4:5], v[8:9]
	v_fma_f64 v[10:11], v[2:3], v[6:7], -v[10:11]
	v_mul_f64 v[2:3], v[2:3], v[8:9]
	v_fma_f64 v[12:13], v[4:5], v[6:7], v[2:3]
	global_load_dwordx4 v[6:9], v[14:15], off offset:1440
	ds_read_b128 v[2:5], v176 offset:4752
	;; [unrolled: 8-line block ×7, first 2 shown]
	ds_write_b128 v176, v[10:13] offset:6864
	s_waitcnt vmcnt(0) lgkmcnt(1)
	v_mul_f64 v[10:11], v[4:5], v[8:9]
	v_fma_f64 v[10:11], v[2:3], v[6:7], -v[10:11]
	v_mul_f64 v[2:3], v[2:3], v[8:9]
	v_fma_f64 v[12:13], v[4:5], v[6:7], v[2:3]
	ds_read_b128 v[2:5], v176 offset:7920
	ds_write_b128 v176, v[10:13] offset:7392
	v_add_co_u32_e32 v10, vcc, s10, v0
	v_addc_co_u32_e32 v11, vcc, 0, v1, vcc
	global_load_dwordx4 v[6:9], v[10:11], off offset:512
	s_waitcnt vmcnt(0) lgkmcnt(1)
	v_mul_f64 v[0:1], v[4:5], v[8:9]
	v_fma_f64 v[0:1], v[2:3], v[6:7], -v[0:1]
	v_mul_f64 v[2:3], v[2:3], v[8:9]
	v_fma_f64 v[2:3], v[4:5], v[6:7], v[2:3]
	global_load_dwordx4 v[4:7], v[10:11], off offset:1040
	ds_write_b128 v176, v[0:3] offset:7920
	ds_read_b128 v[0:3], v176 offset:8448
	s_waitcnt vmcnt(0) lgkmcnt(0)
	v_mul_f64 v[8:9], v[2:3], v[6:7]
	v_fma_f64 v[8:9], v[0:1], v[4:5], -v[8:9]
	v_mul_f64 v[0:1], v[0:1], v[6:7]
	v_fma_f64 v[10:11], v[2:3], v[4:5], v[0:1]
	ds_write_b128 v176, v[8:11] offset:8448
.LBB0_13:
	s_or_b64 exec, exec, s[8:9]
	s_waitcnt lgkmcnt(0)
	s_barrier
	s_and_saveexec_b64 s[8:9], s[0:1]
	s_cbranch_execz .LBB0_15
; %bb.14:
	ds_read_b128 v[96:99], v176
	ds_read_b128 v[100:103], v176 offset:528
	ds_read_b128 v[104:107], v176 offset:1056
	;; [unrolled: 1-line block ×16, first 2 shown]
.LBB0_15:
	s_or_b64 exec, exec, s[8:9]
	s_waitcnt lgkmcnt(0)
	v_add_f64 v[179:180], v[102:103], v[36:37]
	v_add_f64 v[54:55], v[102:103], -v[36:37]
	v_add_f64 v[185:186], v[106:107], v[40:41]
	s_mov_b32 s10, 0x910ea3b9
	s_mov_b32 s20, 0x4363dd80
	;; [unrolled: 1-line block ×10, first 2 shown]
	v_mul_f64 v[4:5], v[54:55], s[20:21]
	v_mul_f64 v[6:7], v[179:180], s[10:11]
	;; [unrolled: 1-line block ×5, first 2 shown]
	buffer_store_dword v4, off, s[64:67], 0 ; 4-byte Folded Spill
	s_nop 0
	buffer_store_dword v5, off, s[64:67], 0 offset:4 ; 4-byte Folded Spill
	buffer_store_dword v6, off, s[64:67], 0 offset:16 ; 4-byte Folded Spill
	s_nop 0
	buffer_store_dword v7, off, s[64:67], 0 offset:20 ; 4-byte Folded Spill
	buffer_store_dword v8, off, s[64:67], 0 offset:64 ; 4-byte Folded Spill
	;; [unrolled: 3-line block ×4, first 2 shown]
	s_nop 0
	buffer_store_dword v15, off, s[64:67], 0 offset:36 ; 4-byte Folded Spill
	s_mov_b32 s18, 0x6c9a05f6
	s_mov_b32 s19, 0xbfe9895b
	v_add_f64 v[177:178], v[100:101], v[34:35]
	v_mul_f64 v[50:51], v[54:55], s[18:19]
	v_add_f64 v[32:33], v[106:107], -v[40:41]
	s_mov_b32 s8, 0x6ed5f1bb
	s_mov_b32 s40, 0x923c349f
	;; [unrolled: 1-line block ×4, first 2 shown]
	v_add_f64 v[189:190], v[100:101], -v[34:35]
	v_mul_f64 v[152:153], v[179:180], s[8:9]
	v_fma_f64 v[0:1], v[177:178], s[8:9], -v[50:51]
	v_add_f64 v[183:184], v[104:105], v[38:39]
	v_mul_f64 v[154:155], v[32:33], s[40:41]
	v_add_f64 v[199:200], v[104:105], -v[38:39]
	s_mov_b32 s42, 0x7c9e640b
	s_mov_b32 s43, 0x3feca52d
	;; [unrolled: 1-line block ×3, first 2 shown]
	v_fma_f64 v[2:3], v[189:190], s[18:19], v[152:153]
	v_add_f64 v[0:1], v[96:97], v[0:1]
	s_mov_b32 s27, 0x3fdc86fa
	v_fma_f64 v[12:13], v[183:184], s[22:23], -v[154:155]
	s_mov_b32 s44, 0x5d8e7cdc
	s_mov_b32 s45, 0x3fd71e95
	v_mul_f64 v[251:252], v[32:33], s[44:45]
	s_mov_b32 s28, 0x370991
	v_add_f64 v[2:3], v[98:99], v[2:3]
	s_mov_b32 s29, 0x3fedd6d0
	v_mul_f64 v[253:254], v[185:186], s[28:29]
	v_add_f64 v[0:1], v[12:13], v[0:1]
	v_add_f64 v[52:53], v[118:119], -v[44:45]
	s_mov_b32 s35, 0xbfd71e95
	s_mov_b32 s34, s44
	v_add_f64 v[193:194], v[118:119], v[44:45]
	v_add_f64 v[191:192], v[116:117], v[42:43]
	v_add_f64 v[201:202], v[116:117], -v[42:43]
	s_mov_b32 s36, 0xeb564b22
	s_mov_b32 s37, 0xbfefdd0d
	s_mov_b32 s30, 0x3259b75e
	s_mov_b32 s31, 0x3fb79ee6
	v_mul_f64 v[26:27], v[52:53], s[20:21]
	v_mul_f64 v[158:159], v[193:194], s[10:11]
	v_add_f64 v[205:206], v[126:127], -v[48:49]
	v_add_f64 v[203:204], v[126:127], v[48:49]
	v_add_f64 v[197:198], v[124:125], v[46:47]
	v_add_f64 v[207:208], v[124:125], -v[46:47]
	s_mov_b32 s55, 0x3fe9895b
	s_mov_b32 s54, s18
	;; [unrolled: 1-line block ×5, first 2 shown]
	v_mul_f64 v[22:23], v[203:204], s[8:9]
	s_mov_b32 s39, 0x3fe7a5f6
	v_add_f64 v[213:214], v[130:131], -v[30:31]
	s_mov_b32 s57, 0x3fefdd0d
	s_mov_b32 s56, s36
	v_add_f64 v[209:210], v[128:129], v[28:29]
	v_add_f64 v[211:212], v[130:131], v[30:31]
	v_add_f64 v[217:218], v[128:129], -v[28:29]
	v_add_f64 v[221:222], v[138:139], -v[94:95]
	s_mov_b32 s47, 0xbfe58eea
	v_mul_f64 v[156:157], v[213:214], s[34:35]
	s_mov_b32 s46, s52
	v_add_f64 v[215:216], v[136:137], v[92:93]
	v_add_f64 v[219:220], v[138:139], v[94:95]
	v_mul_f64 v[195:196], v[211:212], s[30:31]
	v_mul_f64 v[20:21], v[211:212], s[28:29]
	v_add_f64 v[223:224], v[136:137], -v[92:93]
	v_mul_f64 v[162:163], v[221:222], s[24:25]
	v_mul_f64 v[170:171], v[221:222], s[42:43]
	v_add_f64 v[235:236], v[134:135], -v[110:111]
	v_add_f64 v[225:226], v[132:133], v[108:109]
	v_mul_f64 v[160:161], v[219:220], s[38:39]
	v_mul_f64 v[172:173], v[219:220], s[26:27]
	v_fma_f64 v[4:5], v[177:178], s[10:11], -v[4:5]
	v_fma_f64 v[6:7], v[189:190], s[20:21], v[6:7]
	v_fma_f64 v[8:9], v[177:178], s[16:17], -v[8:9]
	v_fma_f64 v[10:11], v[189:190], s[24:25], v[10:11]
	v_fma_f64 v[12:13], v[199:200], s[40:41], v[14:15]
	v_mul_f64 v[14:15], v[185:186], s[26:27]
	v_add_f64 v[227:228], v[134:135], v[110:111]
	v_add_f64 v[233:234], v[132:133], -v[108:109]
	v_add_f64 v[4:5], v[96:97], v[4:5]
	v_add_f64 v[6:7], v[98:99], v[6:7]
	v_add_f64 v[8:9], v[96:97], v[8:9]
	v_add_f64 v[10:11], v[98:99], v[10:11]
	v_add_f64 v[2:3], v[12:13], v[2:3]
	v_mul_f64 v[12:13], v[32:33], s[42:43]
	buffer_store_dword v12, off, s[64:67], 0 offset:48 ; 4-byte Folded Spill
	s_nop 0
	buffer_store_dword v13, off, s[64:67], 0 offset:52 ; 4-byte Folded Spill
	buffer_store_dword v14, off, s[64:67], 0 offset:276 ; 4-byte Folded Spill
	s_nop 0
	buffer_store_dword v15, off, s[64:67], 0 offset:280 ; 4-byte Folded Spill
	v_mul_f64 v[164:165], v[227:228], s[38:39]
	s_mov_b32 s51, 0xbfeec746
	s_mov_b32 s50, s40
	v_mul_f64 v[174:175], v[235:236], s[50:51]
	v_mul_f64 v[241:242], v[227:228], s[22:23]
	v_add_f64 v[239:240], v[122:123], -v[114:115]
	v_add_f64 v[229:230], v[120:121], v[112:113]
	v_add_f64 v[231:232], v[122:123], v[114:115]
	v_add_f64 v[237:238], v[120:121], -v[112:113]
	v_mul_f64 v[166:167], v[239:240], s[50:51]
	v_mul_f64 v[243:244], v[239:240], s[56:57]
	;; [unrolled: 1-line block ×4, first 2 shown]
	v_fma_f64 v[12:13], v[183:184], s[26:27], -v[12:13]
	v_add_f64 v[4:5], v[12:13], v[4:5]
	v_fma_f64 v[12:13], v[199:200], s[42:43], v[14:15]
	v_mul_f64 v[14:15], v[193:194], s[28:29]
	v_add_f64 v[6:7], v[12:13], v[6:7]
	v_fma_f64 v[12:13], v[183:184], s[28:29], -v[251:252]
	v_add_f64 v[8:9], v[12:13], v[8:9]
	v_fma_f64 v[12:13], v[199:200], s[44:45], v[253:254]
	v_add_f64 v[10:11], v[12:13], v[10:11]
	v_mul_f64 v[12:13], v[52:53], s[34:35]
	buffer_store_dword v12, off, s[64:67], 0 offset:268 ; 4-byte Folded Spill
	s_nop 0
	buffer_store_dword v13, off, s[64:67], 0 offset:272 ; 4-byte Folded Spill
	buffer_store_dword v14, off, s[64:67], 0 offset:292 ; 4-byte Folded Spill
	s_nop 0
	buffer_store_dword v15, off, s[64:67], 0 offset:296 ; 4-byte Folded Spill
	v_fma_f64 v[12:13], v[191:192], s[28:29], -v[12:13]
	v_add_f64 v[0:1], v[12:13], v[0:1]
	v_fma_f64 v[12:13], v[201:202], s[34:35], v[14:15]
	v_mul_f64 v[14:15], v[193:194], s[30:31]
	v_add_f64 v[2:3], v[12:13], v[2:3]
	v_mul_f64 v[12:13], v[52:53], s[36:37]
	buffer_store_dword v12, off, s[64:67], 0 offset:300 ; 4-byte Folded Spill
	s_nop 0
	buffer_store_dword v13, off, s[64:67], 0 offset:304 ; 4-byte Folded Spill
	buffer_store_dword v14, off, s[64:67], 0 offset:332 ; 4-byte Folded Spill
	s_nop 0
	buffer_store_dword v15, off, s[64:67], 0 offset:336 ; 4-byte Folded Spill
	v_fma_f64 v[12:13], v[191:192], s[30:31], -v[12:13]
	v_add_f64 v[4:5], v[12:13], v[4:5]
	v_fma_f64 v[12:13], v[201:202], s[36:37], v[14:15]
	v_mul_f64 v[14:15], v[203:204], s[10:11]
	v_add_f64 v[6:7], v[12:13], v[6:7]
	v_fma_f64 v[12:13], v[191:192], s[10:11], -v[26:27]
	v_add_f64 v[12:13], v[12:13], v[8:9]
	v_fma_f64 v[8:9], v[201:202], s[20:21], v[158:159]
	v_add_f64 v[10:11], v[8:9], v[10:11]
	v_mul_f64 v[8:9], v[205:206], s[20:21]
	buffer_store_dword v8, off, s[64:67], 0 offset:308 ; 4-byte Folded Spill
	s_nop 0
	buffer_store_dword v9, off, s[64:67], 0 offset:312 ; 4-byte Folded Spill
	buffer_store_dword v14, off, s[64:67], 0 offset:324 ; 4-byte Folded Spill
	s_nop 0
	buffer_store_dword v15, off, s[64:67], 0 offset:328 ; 4-byte Folded Spill
	v_fma_f64 v[8:9], v[197:198], s[10:11], -v[8:9]
	v_add_f64 v[0:1], v[8:9], v[0:1]
	v_fma_f64 v[8:9], v[207:208], s[20:21], v[14:15]
	v_add_f64 v[2:3], v[8:9], v[2:3]
	v_mul_f64 v[8:9], v[205:206], s[54:55]
	buffer_store_dword v8, off, s[64:67], 0 offset:340 ; 4-byte Folded Spill
	s_nop 0
	buffer_store_dword v9, off, s[64:67], 0 offset:344 ; 4-byte Folded Spill
	v_fma_f64 v[8:9], v[197:198], s[8:9], -v[8:9]
	v_add_f64 v[14:15], v[8:9], v[4:5]
	v_fma_f64 v[4:5], v[207:208], s[54:55], v[22:23]
	v_mul_f64 v[8:9], v[203:204], s[38:39]
	v_add_f64 v[6:7], v[4:5], v[6:7]
	v_mul_f64 v[4:5], v[205:206], s[52:53]
	v_fma_f64 v[16:17], v[197:198], s[38:39], -v[4:5]
	v_add_f64 v[12:13], v[16:17], v[12:13]
	v_fma_f64 v[16:17], v[207:208], s[52:53], v[8:9]
	v_add_f64 v[10:11], v[16:17], v[10:11]
	v_mul_f64 v[16:17], v[213:214], s[56:57]
	buffer_store_dword v16, off, s[64:67], 0 offset:348 ; 4-byte Folded Spill
	s_nop 0
	buffer_store_dword v17, off, s[64:67], 0 offset:352 ; 4-byte Folded Spill
	s_waitcnt vmcnt(0)
	s_barrier
	v_fma_f64 v[16:17], v[209:210], s[30:31], -v[16:17]
	v_add_f64 v[0:1], v[16:17], v[0:1]
	v_fma_f64 v[16:17], v[217:218], s[56:57], v[195:196]
	v_add_f64 v[2:3], v[16:17], v[2:3]
	v_fma_f64 v[16:17], v[209:210], s[28:29], -v[156:157]
	v_add_f64 v[18:19], v[16:17], v[14:15]
	v_fma_f64 v[14:15], v[217:218], s[34:35], v[20:21]
	v_mul_f64 v[16:17], v[211:212], s[8:9]
	v_add_f64 v[6:7], v[14:15], v[6:7]
	v_mul_f64 v[14:15], v[213:214], s[18:19]
	v_fma_f64 v[24:25], v[209:210], s[8:9], -v[14:15]
	v_add_f64 v[12:13], v[24:25], v[12:13]
	v_fma_f64 v[24:25], v[217:218], s[18:19], v[16:17]
	v_add_f64 v[10:11], v[24:25], v[10:11]
	v_mul_f64 v[24:25], v[221:222], s[46:47]
	v_fma_f64 v[140:141], v[215:216], s[38:39], -v[24:25]
	v_add_f64 v[140:141], v[140:141], v[0:1]
	v_fma_f64 v[0:1], v[223:224], s[46:47], v[160:161]
	v_add_f64 v[142:143], v[0:1], v[2:3]
	v_mul_f64 v[0:1], v[219:220], s[16:17]
	v_fma_f64 v[2:3], v[215:216], s[16:17], -v[162:163]
	v_add_f64 v[18:19], v[2:3], v[18:19]
	v_fma_f64 v[2:3], v[223:224], s[24:25], v[0:1]
	v_add_f64 v[144:145], v[2:3], v[6:7]
	v_fma_f64 v[2:3], v[215:216], s[26:27], -v[170:171]
	v_mul_f64 v[6:7], v[227:228], s[16:17]
	v_add_f64 v[12:13], v[2:3], v[12:13]
	v_fma_f64 v[2:3], v[223:224], s[42:43], v[172:173]
	v_add_f64 v[146:147], v[2:3], v[10:11]
	v_mul_f64 v[2:3], v[235:236], s[24:25]
	v_fma_f64 v[10:11], v[225:226], s[16:17], -v[2:3]
	v_add_f64 v[140:141], v[10:11], v[140:141]
	v_fma_f64 v[10:11], v[233:234], s[24:25], v[6:7]
	v_add_f64 v[142:143], v[10:11], v[142:143]
	v_mul_f64 v[10:11], v[235:236], s[52:53]
	v_fma_f64 v[148:149], v[225:226], s[38:39], -v[10:11]
	v_add_f64 v[148:149], v[148:149], v[18:19]
	v_fma_f64 v[18:19], v[233:234], s[52:53], v[164:165]
	v_add_f64 v[150:151], v[18:19], v[144:145]
	v_fma_f64 v[18:19], v[225:226], s[22:23], -v[174:175]
	v_add_f64 v[181:182], v[18:19], v[12:13]
	v_fma_f64 v[12:13], v[233:234], s[50:51], v[241:242]
	v_mul_f64 v[18:19], v[231:232], s[26:27]
	v_add_f64 v[247:248], v[12:13], v[146:147]
	v_mul_f64 v[12:13], v[239:240], s[42:43]
	v_fma_f64 v[144:145], v[229:230], s[26:27], -v[12:13]
	v_add_f64 v[144:145], v[144:145], v[140:141]
	v_fma_f64 v[140:141], v[237:238], s[42:43], v[18:19]
	v_add_f64 v[146:147], v[140:141], v[142:143]
	v_fma_f64 v[140:141], v[229:230], s[22:23], -v[166:167]
	v_fma_f64 v[142:143], v[237:238], s[56:57], v[245:246]
	v_add_f64 v[148:149], v[140:141], v[148:149]
	v_fma_f64 v[140:141], v[237:238], s[50:51], v[168:169]
	v_add_f64 v[142:143], v[142:143], v[247:248]
	v_add_f64 v[150:151], v[140:141], v[150:151]
	v_fma_f64 v[140:141], v[229:230], s[30:31], -v[243:244]
	v_add_f64 v[140:141], v[140:141], v[181:182]
	s_and_saveexec_b64 s[48:49], s[0:1]
	s_cbranch_execz .LBB0_17
; %bb.16:
	buffer_load_dword v187, off, s[64:67], 0 offset:316 ; 4-byte Folded Reload
	buffer_load_dword v188, off, s[64:67], 0 offset:320 ; 4-byte Folded Reload
	v_mul_f64 v[181:182], v[189:190], s[24:25]
	v_mul_f64 v[247:248], v[177:178], s[16:17]
	s_mov_b32 s61, 0x3fe0d888
	s_mov_b32 s60, s20
	;; [unrolled: 1-line block ×4, first 2 shown]
	v_add_f64 v[100:101], v[96:97], v[100:101]
	s_waitcnt vmcnt(0)
	v_add_f64 v[181:182], v[187:188], -v[181:182]
	buffer_load_dword v187, off, s[64:67], 0 offset:64 ; 4-byte Folded Reload
	buffer_load_dword v188, off, s[64:67], 0 offset:68 ; 4-byte Folded Reload
	s_nop 0
	buffer_store_dword v52, off, s[64:67], 0 offset:316 ; 4-byte Folded Spill
	s_nop 0
	buffer_store_dword v53, off, s[64:67], 0 offset:320 ; 4-byte Folded Spill
	v_mov_b32_e32 v52, v249
	v_mov_b32_e32 v53, v250
	v_mul_f64 v[249:250], v[237:238], s[56:57]
	v_add_f64 v[181:182], v[98:99], v[181:182]
	v_add_f64 v[245:246], v[245:246], -v[249:250]
	v_mul_f64 v[249:250], v[199:200], s[44:45]
	v_add_f64 v[249:250], v[253:254], -v[249:250]
	v_mul_f64 v[253:254], v[183:184], s[28:29]
	v_add_f64 v[181:182], v[249:250], v[181:182]
	v_add_f64 v[251:252], v[253:254], v[251:252]
	v_mul_f64 v[253:254], v[201:202], s[20:21]
	v_mul_f64 v[249:250], v[209:210], s[8:9]
	v_add_f64 v[158:159], v[158:159], -v[253:254]
	v_mul_f64 v[253:254], v[191:192], s[10:11]
	v_add_f64 v[14:15], v[249:250], v[14:15]
	v_mul_f64 v[249:250], v[177:178], s[8:9]
	v_add_f64 v[158:159], v[158:159], v[181:182]
	v_add_f64 v[26:27], v[253:254], v[26:27]
	v_mul_f64 v[253:254], v[207:208], s[52:53]
	v_mul_f64 v[181:182], v[189:190], s[18:19]
	v_add_f64 v[249:250], v[249:250], v[50:51]
	v_add_f64 v[8:9], v[8:9], -v[253:254]
	v_mul_f64 v[253:254], v[197:198], s[38:39]
	v_add_f64 v[181:182], v[152:153], -v[181:182]
	v_add_f64 v[249:250], v[96:97], v[249:250]
	v_add_f64 v[8:9], v[8:9], v[158:159]
	;; [unrolled: 1-line block ×3, first 2 shown]
	v_mul_f64 v[253:254], v[217:218], s[18:19]
	v_mul_f64 v[158:159], v[189:190], s[20:21]
	v_add_f64 v[181:182], v[98:99], v[181:182]
	v_add_f64 v[16:17], v[16:17], -v[253:254]
	v_mul_f64 v[253:254], v[215:216], s[26:27]
	s_waitcnt vmcnt(2)
	v_add_f64 v[247:248], v[247:248], v[187:188]
	buffer_load_dword v187, off, s[64:67], 0 offset:16 ; 4-byte Folded Reload
	buffer_load_dword v188, off, s[64:67], 0 offset:20 ; 4-byte Folded Reload
	s_nop 0
	buffer_store_dword v28, off, s[64:67], 0 offset:64 ; 4-byte Folded Spill
	s_nop 0
	buffer_store_dword v29, off, s[64:67], 0 offset:68 ; 4-byte Folded Spill
	buffer_store_dword v30, off, s[64:67], 0 offset:72 ; 4-byte Folded Spill
	;; [unrolled: 1-line block ×3, first 2 shown]
	v_add_f64 v[8:9], v[16:17], v[8:9]
	v_add_f64 v[170:171], v[253:254], v[170:171]
	v_mul_f64 v[253:254], v[177:178], s[10:11]
	v_mul_f64 v[16:17], v[183:184], s[26:27]
	;; [unrolled: 1-line block ×3, first 2 shown]
	v_add_f64 v[247:248], v[96:97], v[247:248]
	v_mul_f64 v[28:29], v[191:192], s[28:29]
	v_add_f64 v[247:248], v[251:252], v[247:248]
	v_mul_f64 v[251:252], v[223:224], s[42:43]
	v_add_f64 v[26:27], v[26:27], v[247:248]
	v_add_f64 v[172:173], v[172:173], -v[251:252]
	v_mul_f64 v[251:252], v[225:226], s[22:23]
	v_mul_f64 v[247:248], v[233:234], s[50:51]
	v_add_f64 v[4:5], v[4:5], v[26:27]
	v_add_f64 v[8:9], v[172:173], v[8:9]
	buffer_load_dword v172, off, s[64:67], 0 offset:276 ; 4-byte Folded Reload
	buffer_load_dword v173, off, s[64:67], 0 offset:280 ; 4-byte Folded Reload
	v_add_f64 v[174:175], v[251:252], v[174:175]
	v_mul_f64 v[251:252], v[199:200], s[40:41]
	v_mul_f64 v[26:27], v[229:230], s[30:31]
	v_add_f64 v[241:242], v[241:242], -v[247:248]
	v_mul_f64 v[247:248], v[183:184], s[22:23]
	v_add_f64 v[4:5], v[14:15], v[4:5]
	v_mul_f64 v[14:15], v[207:208], s[54:55]
	v_add_f64 v[26:27], v[26:27], v[243:244]
	;; [unrolled: 2-line block ×3, first 2 shown]
	v_add_f64 v[4:5], v[170:171], v[4:5]
	v_add_f64 v[14:15], v[22:23], -v[14:15]
	v_mul_f64 v[22:23], v[201:202], s[36:37]
	v_mul_f64 v[170:171], v[191:192], s[30:31]
	;; [unrolled: 1-line block ×3, first 2 shown]
	v_add_f64 v[50:51], v[247:248], v[154:155]
	v_mul_f64 v[247:248], v[237:238], s[50:51]
	v_add_f64 v[4:5], v[174:175], v[4:5]
	v_mul_f64 v[174:175], v[197:198], s[8:9]
	s_waitcnt vmcnt(6)
	v_add_f64 v[158:159], v[187:188], -v[158:159]
	buffer_load_dword v187, off, s[64:67], 0 ; 4-byte Folded Reload
	buffer_load_dword v188, off, s[64:67], 0 offset:4 ; 4-byte Folded Reload
	s_nop 0
	buffer_store_dword v92, off, s[64:67], 0 offset:276 ; 4-byte Folded Spill
	s_nop 0
	buffer_store_dword v93, off, s[64:67], 0 offset:280 ; 4-byte Folded Spill
	buffer_store_dword v94, off, s[64:67], 0 offset:284 ; 4-byte Folded Spill
	;; [unrolled: 1-line block ×3, first 2 shown]
	buffer_store_dword v34, off, s[64:67], 0 ; 4-byte Folded Spill
	s_nop 0
	buffer_store_dword v35, off, s[64:67], 0 offset:4 ; 4-byte Folded Spill
	buffer_store_dword v36, off, s[64:67], 0 offset:8 ; 4-byte Folded Spill
	;; [unrolled: 1-line block ×3, first 2 shown]
	buffer_load_dword v36, off, s[64:67], 0 offset:332 ; 4-byte Folded Reload
	s_nop 0
	buffer_load_dword v37, off, s[64:67], 0 offset:336 ; 4-byte Folded Reload
	buffer_load_dword v94, off, s[64:67], 0 offset:48 ; 4-byte Folded Reload
	;; [unrolled: 1-line block ×3, first 2 shown]
	s_nop 0
	buffer_store_dword v38, off, s[64:67], 0 offset:16 ; 4-byte Folded Spill
	s_nop 0
	buffer_store_dword v39, off, s[64:67], 0 offset:20 ; 4-byte Folded Spill
	buffer_store_dword v40, off, s[64:67], 0 offset:24 ; 4-byte Folded Spill
	buffer_store_dword v41, off, s[64:67], 0 offset:28 ; 4-byte Folded Spill
	buffer_load_dword v40, off, s[64:67], 0 offset:32 ; 4-byte Folded Reload
	s_nop 0
	buffer_load_dword v41, off, s[64:67], 0 offset:36 ; 4-byte Folded Reload
	v_add_f64 v[34:35], v[98:99], v[158:159]
	v_mul_f64 v[38:39], v[217:218], s[34:35]
	v_mul_f64 v[158:159], v[217:218], s[56:57]
	v_mov_b32_e32 v93, v91
	v_mov_b32_e32 v92, v90
	;; [unrolled: 1-line block ×6, first 2 shown]
	v_add_f64 v[20:21], v[20:21], -v[38:39]
	v_mov_b32_e32 v87, v85
	v_mov_b32_e32 v86, v84
	;; [unrolled: 1-line block ×15, first 2 shown]
	s_waitcnt vmcnt(20)
	v_add_f64 v[172:173], v[172:173], -v[243:244]
	v_mul_f64 v[243:244], v[197:198], s[10:11]
	v_mov_b32_e32 v72, v70
	v_mov_b32_e32 v71, v69
	;; [unrolled: 1-line block ×6, first 2 shown]
	v_add_f64 v[34:35], v[172:173], v[34:35]
	v_mov_b32_e32 v66, v64
	v_mov_b32_e32 v65, v63
	;; [unrolled: 1-line block ×11, first 2 shown]
	v_mul_f64 v[32:33], v[209:210], s[30:31]
	v_mul_f64 v[172:173], v[215:216], s[38:39]
	s_waitcnt vmcnt(18)
	v_add_f64 v[253:254], v[253:254], v[187:188]
	v_mul_f64 v[187:188], v[223:224], s[46:47]
	s_waitcnt vmcnt(8)
	v_add_f64 v[22:23], v[36:37], -v[22:23]
	s_waitcnt vmcnt(6)
	v_add_f64 v[16:17], v[16:17], v[94:95]
	v_mul_f64 v[36:37], v[209:210], s[28:29]
	s_waitcnt vmcnt(0)
	v_add_f64 v[251:252], v[40:41], -v[251:252]
	buffer_load_dword v40, off, s[64:67], 0 offset:300 ; 4-byte Folded Reload
	buffer_load_dword v41, off, s[64:67], 0 offset:304 ; 4-byte Folded Reload
	s_nop 0
	buffer_store_dword v42, off, s[64:67], 0 offset:32 ; 4-byte Folded Spill
	s_nop 0
	buffer_store_dword v43, off, s[64:67], 0 offset:36 ; 4-byte Folded Spill
	buffer_store_dword v44, off, s[64:67], 0 offset:40 ; 4-byte Folded Spill
	buffer_store_dword v45, off, s[64:67], 0 offset:44 ; 4-byte Folded Spill
	buffer_load_dword v44, off, s[64:67], 0 offset:292 ; 4-byte Folded Reload
	s_nop 0
	buffer_load_dword v45, off, s[64:67], 0 offset:296 ; 4-byte Folded Reload
	s_nop 0
	buffer_store_dword v46, off, s[64:67], 0 offset:48 ; 4-byte Folded Spill
	s_nop 0
	buffer_store_dword v47, off, s[64:67], 0 offset:52 ; 4-byte Folded Spill
	buffer_store_dword v48, off, s[64:67], 0 offset:56 ; 4-byte Folded Spill
	;; [unrolled: 1-line block ×3, first 2 shown]
	buffer_load_dword v46, off, s[64:67], 0 offset:340 ; 4-byte Folded Reload
	s_nop 0
	buffer_load_dword v47, off, s[64:67], 0 offset:344 ; 4-byte Folded Reload
	v_add_f64 v[253:254], v[96:97], v[253:254]
	v_add_f64 v[22:23], v[22:23], v[34:35]
	buffer_load_dword v48, off, s[64:67], 0 offset:324 ; 4-byte Folded Reload
	buffer_load_dword v49, off, s[64:67], 0 offset:328 ; 4-byte Folded Reload
	;; [unrolled: 1-line block ×4, first 2 shown]
	v_mul_f64 v[42:43], v[223:224], s[24:25]
	v_add_f64 v[181:182], v[251:252], v[181:182]
	v_mul_f64 v[34:35], v[233:234], s[52:53]
	v_mul_f64 v[251:252], v[233:234], s[24:25]
	v_add_f64 v[16:17], v[16:17], v[253:254]
	v_add_f64 v[14:15], v[14:15], v[22:23]
	;; [unrolled: 1-line block ×3, first 2 shown]
	v_add_f64 v[36:37], v[195:196], -v[158:159]
	v_add_f64 v[0:1], v[0:1], -v[42:43]
	v_mul_f64 v[253:254], v[225:226], s[16:17]
	v_add_f64 v[34:35], v[164:165], -v[34:35]
	v_add_f64 v[6:7], v[6:7], -v[251:252]
	v_add_f64 v[14:15], v[20:21], v[14:15]
	v_add_f64 v[0:1], v[0:1], v[14:15]
	;; [unrolled: 1-line block ×3, first 2 shown]
	s_waitcnt vmcnt(16)
	v_add_f64 v[170:171], v[170:171], v[40:41]
	v_mul_f64 v[40:41], v[215:216], s[16:17]
	s_waitcnt vmcnt(10)
	v_add_f64 v[30:31], v[44:45], -v[30:31]
	v_mul_f64 v[44:45], v[225:226], s[38:39]
	s_waitcnt vmcnt(4)
	v_add_f64 v[46:47], v[174:175], v[46:47]
	v_mul_f64 v[174:175], v[229:230], s[26:27]
	s_waitcnt vmcnt(2)
	v_add_f64 v[241:242], v[48:49], -v[241:242]
	v_add_f64 v[16:17], v[170:171], v[16:17]
	v_add_f64 v[20:21], v[40:41], v[162:163]
	buffer_load_dword v40, off, s[64:67], 0 offset:308 ; 4-byte Folded Reload
	buffer_load_dword v41, off, s[64:67], 0 offset:312 ; 4-byte Folded Reload
	v_add_f64 v[30:31], v[30:31], v[181:182]
	s_waitcnt vmcnt(2)
	v_add_f64 v[28:29], v[28:29], v[38:39]
	v_add_f64 v[38:39], v[50:51], v[249:250]
	v_mul_f64 v[170:171], v[237:238], s[42:43]
	v_mul_f64 v[48:49], v[229:230], s[22:23]
	v_add_f64 v[16:17], v[46:47], v[16:17]
	v_add_f64 v[10:11], v[44:45], v[10:11]
	v_mov_b32_e32 v250, v53
	v_add_f64 v[30:31], v[241:242], v[30:31]
	v_mov_b32_e32 v249, v52
	;; [unrolled: 2-line block ×3, first 2 shown]
	v_mov_b32_e32 v53, v57
	v_add_f64 v[16:17], v[22:23], v[16:17]
	v_add_f64 v[22:23], v[160:161], -v[187:188]
	v_add_f64 v[30:31], v[36:37], v[30:31]
	v_mul_f64 v[36:37], v[205:206], s[58:59]
	v_add_f64 v[14:15], v[20:21], v[16:17]
	buffer_load_dword v16, off, s[64:67], 0 offset:348 ; 4-byte Folded Reload
	buffer_load_dword v17, off, s[64:67], 0 offset:352 ; 4-byte Folded Reload
	;; [unrolled: 1-line block ×4, first 2 shown]
	v_add_f64 v[22:23], v[22:23], v[30:31]
	v_add_f64 v[30:31], v[48:49], v[166:167]
	v_fma_f64 v[42:43], v[197:198], s[26:27], -v[36:37]
	v_add_f64 v[10:11], v[10:11], v[14:15]
	v_add_f64 v[14:15], v[18:19], -v[170:171]
	v_add_f64 v[18:19], v[172:173], v[24:25]
	v_add_f64 v[6:7], v[6:7], v[22:23]
	v_mul_f64 v[24:25], v[207:208], s[58:59]
	v_add_f64 v[156:157], v[30:31], v[10:11]
	v_mul_f64 v[10:11], v[54:55], s[50:51]
	;; [unrolled: 2-line block ×3, first 2 shown]
	v_fma_f64 v[34:35], v[203:204], s[26:27], v[24:25]
	v_mul_f64 v[14:15], v[233:234], s[34:35]
	v_fma_f64 v[24:25], v[203:204], s[26:27], -v[24:25]
	v_fma_f64 v[22:23], v[177:178], s[22:23], -v[10:11]
	v_fma_f64 v[10:11], v[177:178], s[22:23], v[10:11]
	v_add_f64 v[22:23], v[96:97], v[22:23]
	v_add_f64 v[10:11], v[96:97], v[10:11]
	s_waitcnt vmcnt(4)
	v_add_f64 v[40:41], v[243:244], v[40:41]
	v_add_f64 v[20:21], v[40:41], v[28:29]
	v_add_f64 v[28:29], v[168:169], -v[247:248]
	v_add_f64 v[247:248], v[245:246], v[8:9]
	v_add_f64 v[8:9], v[174:175], v[12:13]
	v_add_f64 v[245:246], v[26:27], v[4:5]
	v_mul_f64 v[40:41], v[213:214], s[24:25]
	v_add_f64 v[158:159], v[28:29], v[0:1]
	v_add_f64 v[0:1], v[253:254], v[2:3]
	v_mul_f64 v[2:3], v[189:190], s[50:51]
	v_fma_f64 v[44:45], v[209:210], s[16:17], -v[40:41]
	s_waitcnt vmcnt(2)
	v_add_f64 v[16:17], v[32:33], v[16:17]
	s_waitcnt vmcnt(0)
	v_mul_f64 v[28:29], v[46:47], s[52:53]
	v_mul_f64 v[32:33], v[217:218], s[24:25]
	v_mov_b32_e32 v153, v47
	v_fma_f64 v[12:13], v[179:180], s[22:23], v[2:3]
	v_fma_f64 v[2:3], v[179:180], s[22:23], -v[2:3]
	v_mov_b32_e32 v152, v46
	v_add_f64 v[16:17], v[16:17], v[20:21]
	v_mul_f64 v[20:21], v[56:57], s[60:61]
	v_fma_f64 v[38:39], v[191:192], s[38:39], -v[28:29]
	v_fma_f64 v[28:29], v[191:192], s[38:39], v[28:29]
	v_add_f64 v[12:13], v[98:99], v[12:13]
	v_add_f64 v[2:3], v[98:99], v[2:3]
	;; [unrolled: 1-line block ×3, first 2 shown]
	v_mul_f64 v[16:17], v[201:202], s[52:53]
	v_fma_f64 v[18:19], v[185:186], s[10:11], v[6:7]
	v_fma_f64 v[30:31], v[183:184], s[10:11], -v[20:21]
	v_fma_f64 v[6:7], v[185:186], s[10:11], -v[6:7]
	v_fma_f64 v[20:21], v[183:184], s[10:11], v[20:21]
	v_add_f64 v[0:1], v[0:1], v[4:5]
	v_fma_f64 v[26:27], v[193:194], s[38:39], v[16:17]
	v_add_f64 v[12:13], v[18:19], v[12:13]
	v_add_f64 v[22:23], v[30:31], v[22:23]
	v_fma_f64 v[30:31], v[211:212], s[16:17], v[32:33]
	v_fma_f64 v[16:17], v[193:194], s[38:39], -v[16:17]
	v_add_f64 v[2:3], v[6:7], v[2:3]
	v_mul_f64 v[4:5], v[237:238], s[18:19]
	v_fma_f64 v[18:19], v[227:228], s[28:29], v[14:15]
	v_fma_f64 v[32:33], v[211:212], s[16:17], -v[32:33]
	v_add_f64 v[12:13], v[26:27], v[12:13]
	v_mul_f64 v[26:27], v[223:224], s[56:57]
	v_add_f64 v[22:23], v[38:39], v[22:23]
	v_mul_f64 v[38:39], v[221:222], s[56:57]
	v_add_f64 v[2:3], v[16:17], v[2:3]
	v_mul_f64 v[16:17], v[239:240], s[18:19]
	v_add_f64 v[10:11], v[20:21], v[10:11]
	v_fma_f64 v[20:21], v[231:232], s[8:9], v[4:5]
	v_add_f64 v[12:13], v[34:35], v[12:13]
	v_fma_f64 v[34:35], v[219:220], s[30:31], v[26:27]
	v_add_f64 v[6:7], v[42:43], v[22:23]
	v_mul_f64 v[22:23], v[235:236], s[34:35]
	v_add_f64 v[2:3], v[24:25], v[2:3]
	v_fma_f64 v[24:25], v[219:220], s[30:31], -v[26:27]
	v_fma_f64 v[26:27], v[197:198], s[26:27], v[36:37]
	v_add_f64 v[10:11], v[28:29], v[10:11]
	v_add_f64 v[12:13], v[30:31], v[12:13]
	v_fma_f64 v[30:31], v[215:216], s[30:31], -v[38:39]
	v_add_f64 v[6:7], v[44:45], v[6:7]
	v_add_f64 v[160:161], v[8:9], v[0:1]
	;; [unrolled: 1-line block ×3, first 2 shown]
	v_fma_f64 v[0:1], v[227:228], s[28:29], -v[14:15]
	v_mul_f64 v[14:15], v[54:55], s[36:37]
	v_fma_f64 v[8:9], v[209:210], s[16:17], v[40:41]
	v_add_f64 v[12:13], v[34:35], v[12:13]
	v_fma_f64 v[34:35], v[225:226], s[28:29], -v[22:23]
	v_add_f64 v[6:7], v[30:31], v[6:7]
	v_add_f64 v[10:11], v[26:27], v[10:11]
	;; [unrolled: 1-line block ×3, first 2 shown]
	v_mul_f64 v[28:29], v[46:47], s[40:41]
	v_fma_f64 v[24:25], v[177:178], s[30:31], -v[14:15]
	v_mul_f64 v[36:37], v[213:214], s[58:59]
	v_add_f64 v[12:13], v[18:19], v[12:13]
	v_fma_f64 v[18:19], v[229:230], s[8:9], -v[16:17]
	v_add_f64 v[6:7], v[34:35], v[6:7]
	v_add_f64 v[8:9], v[8:9], v[10:11]
	;; [unrolled: 1-line block ×3, first 2 shown]
	v_fma_f64 v[2:3], v[225:226], s[28:29], v[22:23]
	v_mul_f64 v[22:23], v[56:57], s[24:25]
	v_mul_f64 v[10:11], v[201:202], s[40:41]
	v_add_f64 v[166:167], v[20:21], v[12:13]
	v_mul_f64 v[12:13], v[189:190], s[36:37]
	v_add_f64 v[164:165], v[18:19], v[6:7]
	v_mul_f64 v[18:19], v[199:200], s[24:25]
	v_fma_f64 v[6:7], v[215:216], s[30:31], v[38:39]
	v_add_f64 v[24:25], v[96:97], v[24:25]
	v_fma_f64 v[30:31], v[183:184], s[16:17], -v[22:23]
	v_fma_f64 v[32:33], v[193:194], s[22:23], v[10:11]
	v_fma_f64 v[34:35], v[191:192], s[22:23], -v[28:29]
	v_fma_f64 v[20:21], v[179:180], s[30:31], v[12:13]
	v_fma_f64 v[12:13], v[179:180], s[30:31], -v[12:13]
	v_fma_f64 v[26:27], v[185:186], s[16:17], v[18:19]
	v_add_f64 v[6:7], v[6:7], v[8:9]
	v_fma_f64 v[8:9], v[229:230], s[8:9], v[16:17]
	v_mul_f64 v[16:17], v[207:208], s[44:45]
	v_add_f64 v[24:25], v[30:31], v[24:25]
	v_fma_f64 v[18:19], v[185:186], s[16:17], -v[18:19]
	v_add_f64 v[20:21], v[98:99], v[20:21]
	v_add_f64 v[12:13], v[98:99], v[12:13]
	v_fma_f64 v[10:11], v[193:194], s[22:23], -v[10:11]
	v_add_f64 v[2:3], v[2:3], v[6:7]
	v_mul_f64 v[6:7], v[217:218], s[58:59]
	v_fma_f64 v[30:31], v[203:204], s[28:29], v[16:17]
	v_add_f64 v[24:25], v[34:35], v[24:25]
	v_fma_f64 v[40:41], v[209:210], s[26:27], -v[36:37]
	v_add_f64 v[20:21], v[26:27], v[20:21]
	v_mul_f64 v[26:27], v[205:206], s[44:45]
	v_add_f64 v[12:13], v[18:19], v[12:13]
	v_mul_f64 v[18:19], v[221:222], s[20:21]
	v_fma_f64 v[34:35], v[211:212], s[26:27], v[6:7]
	v_fma_f64 v[16:17], v[203:204], s[28:29], -v[16:17]
	v_fma_f64 v[14:15], v[177:178], s[30:31], v[14:15]
	v_fma_f64 v[6:7], v[211:212], s[26:27], -v[6:7]
	v_add_f64 v[20:21], v[32:33], v[20:21]
	v_fma_f64 v[38:39], v[197:198], s[28:29], -v[26:27]
	v_mul_f64 v[32:33], v[223:224], s[20:21]
	v_add_f64 v[10:11], v[10:11], v[12:13]
	v_mul_f64 v[12:13], v[235:236], s[54:55]
	v_fma_f64 v[42:43], v[215:216], s[10:11], -v[18:19]
	v_fma_f64 v[4:5], v[231:232], s[8:9], -v[4:5]
	v_fma_f64 v[22:23], v[183:184], s[16:17], v[22:23]
	v_add_f64 v[20:21], v[30:31], v[20:21]
	v_add_f64 v[24:25], v[38:39], v[24:25]
	v_mul_f64 v[30:31], v[233:234], s[54:55]
	v_fma_f64 v[38:39], v[219:220], s[10:11], v[32:33]
	v_add_f64 v[10:11], v[16:17], v[10:11]
	v_mul_f64 v[16:17], v[239:240], s[52:53]
	v_add_f64 v[14:15], v[96:97], v[14:15]
	v_fma_f64 v[32:33], v[219:220], s[10:11], -v[32:33]
	v_add_f64 v[20:21], v[34:35], v[20:21]
	v_add_f64 v[24:25], v[40:41], v[24:25]
	v_fma_f64 v[40:41], v[227:228], s[8:9], v[30:31]
	v_mul_f64 v[34:35], v[237:238], s[52:53]
	v_add_f64 v[6:7], v[6:7], v[10:11]
	v_add_f64 v[174:175], v[4:5], v[0:1]
	v_fma_f64 v[0:1], v[191:192], s[22:23], v[28:29]
	v_add_f64 v[4:5], v[22:23], v[14:15]
	v_add_f64 v[20:21], v[38:39], v[20:21]
	v_fma_f64 v[38:39], v[225:226], s[8:9], -v[12:13]
	v_add_f64 v[24:25], v[42:43], v[24:25]
	v_fma_f64 v[14:15], v[227:228], s[8:9], -v[30:31]
	v_add_f64 v[6:7], v[32:33], v[6:7]
	v_add_f64 v[172:173], v[8:9], v[2:3]
	v_mul_f64 v[8:9], v[189:190], s[58:59]
	v_fma_f64 v[42:43], v[231:232], s[38:39], v[34:35]
	v_add_f64 v[10:11], v[40:41], v[20:21]
	v_fma_f64 v[20:21], v[229:230], s[38:39], -v[16:17]
	v_add_f64 v[24:25], v[38:39], v[24:25]
	v_fma_f64 v[2:3], v[197:198], s[28:29], v[26:27]
	v_add_f64 v[0:1], v[0:1], v[4:5]
	v_add_f64 v[6:7], v[14:15], v[6:7]
	v_mul_f64 v[14:15], v[54:55], s[58:59]
	v_fma_f64 v[22:23], v[179:180], s[26:27], v[8:9]
	s_mov_b32 s55, 0x3fc7851a
	s_mov_b32 s54, s24
	v_add_f64 v[168:169], v[20:21], v[24:25]
	v_mul_f64 v[20:21], v[199:200], s[18:19]
	v_add_f64 v[170:171], v[42:43], v[10:11]
	v_fma_f64 v[10:11], v[215:216], s[10:11], v[18:19]
	v_fma_f64 v[18:19], v[209:210], s[26:27], v[36:37]
	v_add_f64 v[0:1], v[2:3], v[0:1]
	v_mul_f64 v[24:25], v[52:53], s[18:19]
	v_fma_f64 v[2:3], v[177:178], s[26:27], -v[14:15]
	v_mul_f64 v[26:27], v[201:202], s[54:55]
	v_fma_f64 v[28:29], v[185:186], s[8:9], v[20:21]
	v_add_f64 v[22:23], v[98:99], v[22:23]
	v_fma_f64 v[4:5], v[231:232], s[38:39], -v[34:35]
	v_mul_f64 v[32:33], v[207:208], s[40:41]
	v_add_f64 v[0:1], v[18:19], v[0:1]
	v_mul_f64 v[18:19], v[152:153], s[54:55]
	v_fma_f64 v[30:31], v[183:184], s[8:9], -v[24:25]
	v_add_f64 v[2:3], v[96:97], v[2:3]
	v_fma_f64 v[34:35], v[193:194], s[16:17], v[26:27]
	v_add_f64 v[22:23], v[28:29], v[22:23]
	v_fma_f64 v[8:9], v[179:180], s[26:27], -v[8:9]
	v_fma_f64 v[36:37], v[203:204], s[22:23], v[32:33]
	v_add_f64 v[0:1], v[10:11], v[0:1]
	v_mul_f64 v[10:11], v[205:206], s[40:41]
	v_fma_f64 v[28:29], v[191:192], s[16:17], -v[18:19]
	v_add_f64 v[2:3], v[30:31], v[2:3]
	v_mul_f64 v[30:31], v[217:218], s[52:53]
	v_add_f64 v[22:23], v[34:35], v[22:23]
	v_fma_f64 v[20:21], v[185:186], s[8:9], -v[20:21]
	v_add_f64 v[8:9], v[98:99], v[8:9]
	v_mul_f64 v[34:35], v[213:214], s[52:53]
	v_fma_f64 v[38:39], v[197:198], s[22:23], -v[10:11]
	v_fma_f64 v[26:27], v[193:194], s[16:17], -v[26:27]
	v_add_f64 v[2:3], v[28:29], v[2:3]
	v_mul_f64 v[28:29], v[223:224], s[34:35]
	v_fma_f64 v[40:41], v[211:212], s[38:39], v[30:31]
	v_add_f64 v[22:23], v[36:37], v[22:23]
	v_add_f64 v[8:9], v[20:21], v[8:9]
	v_mul_f64 v[36:37], v[221:222], s[34:35]
	v_fma_f64 v[42:43], v[209:210], s[38:39], -v[34:35]
	v_mul_f64 v[20:21], v[233:234], s[36:37]
	v_add_f64 v[2:3], v[38:39], v[2:3]
	v_fma_f64 v[38:39], v[219:220], s[28:29], v[28:29]
	v_fma_f64 v[32:33], v[203:204], s[22:23], -v[32:33]
	v_add_f64 v[22:23], v[40:41], v[22:23]
	v_add_f64 v[8:9], v[26:27], v[8:9]
	v_fma_f64 v[12:13], v[225:226], s[8:9], v[12:13]
	v_mul_f64 v[40:41], v[235:236], s[36:37]
	v_fma_f64 v[44:45], v[215:216], s[28:29], -v[36:37]
	v_add_f64 v[2:3], v[42:43], v[2:3]
	v_mul_f64 v[26:27], v[237:238], s[20:21]
	v_fma_f64 v[42:43], v[227:228], s[30:31], v[20:21]
	v_add_f64 v[22:23], v[38:39], v[22:23]
	v_fma_f64 v[30:31], v[211:212], s[38:39], -v[30:31]
	v_add_f64 v[8:9], v[32:33], v[8:9]
	v_mul_f64 v[38:39], v[239:240], s[20:21]
	v_fma_f64 v[46:47], v[225:226], s[30:31], -v[40:41]
	v_add_f64 v[2:3], v[44:45], v[2:3]
	v_fma_f64 v[16:17], v[229:230], s[38:39], v[16:17]
	v_add_f64 v[0:1], v[12:13], v[0:1]
	v_fma_f64 v[12:13], v[231:232], s[10:11], v[26:27]
	v_add_f64 v[22:23], v[42:43], v[22:23]
	v_fma_f64 v[28:29], v[219:220], s[28:29], -v[28:29]
	v_add_f64 v[8:9], v[30:31], v[8:9]
	v_fma_f64 v[14:15], v[177:178], s[26:27], v[14:15]
	v_fma_f64 v[32:33], v[229:230], s[10:11], -v[38:39]
	v_add_f64 v[30:31], v[46:47], v[2:3]
	v_add_f64 v[2:3], v[4:5], v[6:7]
	;; [unrolled: 1-line block ×4, first 2 shown]
	v_fma_f64 v[12:13], v[227:228], s[30:31], -v[20:21]
	v_mul_f64 v[16:17], v[189:190], s[46:47]
	v_add_f64 v[8:9], v[28:29], v[8:9]
	v_fma_f64 v[20:21], v[183:184], s[8:9], v[24:25]
	v_mul_f64 v[22:23], v[54:55], s[46:47]
	v_add_f64 v[14:15], v[96:97], v[14:15]
	v_add_f64 v[4:5], v[32:33], v[30:31]
	v_fma_f64 v[24:25], v[231:232], s[10:11], -v[26:27]
	v_mul_f64 v[26:27], v[199:200], s[36:37]
	v_fma_f64 v[28:29], v[179:180], s[38:39], v[16:17]
	v_add_f64 v[8:9], v[12:13], v[8:9]
	v_fma_f64 v[12:13], v[191:192], s[16:17], v[18:19]
	v_mul_f64 v[18:19], v[52:53], s[36:37]
	v_fma_f64 v[30:31], v[177:178], s[38:39], -v[22:23]
	v_add_f64 v[14:15], v[20:21], v[14:15]
	v_mul_f64 v[20:21], v[201:202], s[18:19]
	v_fma_f64 v[32:33], v[185:186], s[30:31], v[26:27]
	v_add_f64 v[28:29], v[98:99], v[28:29]
	v_fma_f64 v[10:11], v[197:198], s[22:23], v[10:11]
	v_mul_f64 v[42:43], v[152:153], s[18:19]
	v_fma_f64 v[44:45], v[183:184], s[30:31], -v[18:19]
	v_add_f64 v[30:31], v[96:97], v[30:31]
	v_add_f64 v[12:13], v[12:13], v[14:15]
	v_fma_f64 v[46:47], v[193:194], s[8:9], v[20:21]
	v_mul_f64 v[14:15], v[207:208], s[24:25]
	v_add_f64 v[28:29], v[32:33], v[28:29]
	v_fma_f64 v[32:33], v[209:210], s[38:39], v[34:35]
	v_mul_f64 v[34:35], v[205:206], s[24:25]
	v_fma_f64 v[48:49], v[191:192], s[8:9], -v[42:43]
	v_add_f64 v[30:31], v[44:45], v[30:31]
	v_add_f64 v[10:11], v[10:11], v[12:13]
	v_fma_f64 v[36:37], v[215:216], s[28:29], v[36:37]
	v_fma_f64 v[44:45], v[203:204], s[16:17], v[14:15]
	v_add_f64 v[28:29], v[46:47], v[28:29]
	v_mul_f64 v[46:47], v[213:214], s[60:61]
	v_fma_f64 v[50:51], v[197:198], s[16:17], -v[34:35]
	v_fma_f64 v[40:41], v[225:226], s[30:31], v[40:41]
	v_add_f64 v[30:31], v[48:49], v[30:31]
	v_add_f64 v[10:11], v[32:33], v[10:11]
	v_fma_f64 v[38:39], v[229:230], s[10:11], v[38:39]
	v_fma_f64 v[16:17], v[179:180], s[38:39], -v[16:17]
	v_add_f64 v[28:29], v[44:45], v[28:29]
	v_fma_f64 v[181:182], v[209:210], s[10:11], -v[46:47]
	v_mul_f64 v[44:45], v[221:222], s[40:41]
	v_mul_f64 v[32:33], v[223:224], s[40:41]
	v_add_f64 v[30:31], v[50:51], v[30:31]
	v_add_f64 v[10:11], v[36:37], v[10:11]
	v_fma_f64 v[26:27], v[185:186], s[30:31], -v[26:27]
	v_add_f64 v[16:17], v[98:99], v[16:17]
	v_fma_f64 v[22:23], v[177:178], s[38:39], v[22:23]
	v_fma_f64 v[20:21], v[193:194], s[8:9], -v[20:21]
	v_fma_f64 v[187:188], v[215:216], s[22:23], -v[44:45]
	v_fma_f64 v[50:51], v[219:220], s[22:23], v[32:33]
	v_add_f64 v[30:31], v[181:182], v[30:31]
	v_add_f64 v[40:41], v[40:41], v[10:11]
	v_mul_f64 v[181:182], v[237:238], s[44:45]
	v_add_f64 v[10:11], v[24:25], v[8:9]
	v_add_f64 v[16:17], v[26:27], v[16:17]
	v_fma_f64 v[26:27], v[219:220], s[22:23], -v[32:33]
	v_fma_f64 v[18:19], v[183:184], s[30:31], v[18:19]
	v_add_f64 v[22:23], v[96:97], v[22:23]
	v_add_f64 v[30:31], v[187:188], v[30:31]
	;; [unrolled: 1-line block ×3, first 2 shown]
	v_fma_f64 v[24:25], v[231:232], s[28:29], v[181:182]
	v_fma_f64 v[40:41], v[231:232], s[28:29], -v[181:182]
	v_mul_f64 v[181:182], v[189:190], s[34:35]
	v_mul_f64 v[32:33], v[199:200], s[46:47]
	;; [unrolled: 1-line block ×3, first 2 shown]
	v_fma_f64 v[14:15], v[203:204], s[16:17], -v[14:15]
	v_add_f64 v[16:17], v[20:21], v[16:17]
	v_fma_f64 v[20:21], v[191:192], s[8:9], v[42:43]
	v_add_f64 v[42:43], v[98:99], v[102:103]
	v_add_f64 v[18:19], v[18:19], v[22:23]
	v_fma_f64 v[187:188], v[179:180], s[28:29], v[181:182]
	v_mul_f64 v[22:23], v[201:202], s[58:59]
	v_fma_f64 v[102:103], v[185:186], s[38:39], v[32:33]
	v_fma_f64 v[48:49], v[211:212], s[10:11], v[12:13]
	v_fma_f64 v[12:13], v[211:212], s[10:11], -v[12:13]
	v_add_f64 v[14:15], v[14:15], v[16:17]
	v_fma_f64 v[16:17], v[197:198], s[16:17], v[34:35]
	v_add_f64 v[34:35], v[42:43], v[106:107]
	v_add_f64 v[187:188], v[98:99], v[187:188]
	v_add_f64 v[42:43], v[100:101], v[104:105]
	v_add_f64 v[18:19], v[20:21], v[18:19]
	v_mul_f64 v[20:21], v[207:208], s[36:37]
	v_fma_f64 v[100:101], v[193:194], s[26:27], v[22:23]
	v_add_f64 v[12:13], v[12:13], v[14:15]
	v_fma_f64 v[14:15], v[209:210], s[10:11], v[46:47]
	v_add_f64 v[34:35], v[34:35], v[118:119]
	v_add_f64 v[102:103], v[102:103], v[187:188]
	buffer_load_dword v187, off, s[64:67], 0 offset:92 ; 4-byte Folded Reload
	v_add_f64 v[16:17], v[16:17], v[18:19]
	v_mul_f64 v[18:19], v[217:218], s[50:51]
	v_fma_f64 v[46:47], v[203:204], s[30:31], v[20:21]
	v_add_f64 v[12:13], v[26:27], v[12:13]
	v_fma_f64 v[26:27], v[215:216], s[22:23], v[44:45]
	v_mul_f64 v[118:119], v[52:53], s[46:47]
	v_add_f64 v[100:101], v[100:101], v[102:103]
	v_mul_f64 v[36:37], v[233:234], s[42:43]
	v_add_f64 v[14:15], v[14:15], v[16:17]
	v_mul_f64 v[16:17], v[223:224], s[18:19]
	v_fma_f64 v[44:45], v[211:212], s[22:23], v[18:19]
	v_add_f64 v[42:43], v[42:43], v[116:117]
	v_add_f64 v[34:35], v[34:35], v[126:127]
	v_fma_f64 v[116:117], v[179:180], s[28:29], -v[181:182]
	v_add_f64 v[46:47], v[46:47], v[100:101]
	v_fma_f64 v[241:242], v[227:228], s[26:27], v[36:37]
	v_fma_f64 v[36:37], v[227:228], s[26:27], -v[36:37]
	v_fma_f64 v[100:101], v[219:220], s[8:9], v[16:17]
	v_add_f64 v[26:27], v[26:27], v[14:15]
	v_add_f64 v[42:43], v[42:43], v[124:125]
	v_add_f64 v[34:35], v[34:35], v[130:131]
	v_fma_f64 v[32:33], v[185:186], s[38:39], -v[32:33]
	v_add_f64 v[44:45], v[44:45], v[46:47]
	v_add_f64 v[98:99], v[98:99], v[116:117]
	;; [unrolled: 1-line block ×3, first 2 shown]
	v_fma_f64 v[116:117], v[183:184], s[38:39], v[118:119]
	v_mov_b32_e32 v56, v58
	v_add_f64 v[42:43], v[42:43], v[128:129]
	v_add_f64 v[34:35], v[34:35], v[138:139]
	v_mov_b32_e32 v57, v59
	v_add_f64 v[44:45], v[100:101], v[44:45]
	v_mul_f64 v[100:101], v[54:55], s[34:35]
	buffer_load_dword v52, off, s[64:67], 0 offset:276 ; 4-byte Folded Reload
	buffer_load_dword v53, off, s[64:67], 0 offset:280 ; 4-byte Folded Reload
	;; [unrolled: 1-line block ×4, first 2 shown]
	v_add_f64 v[14:15], v[40:41], v[12:13]
	v_mov_b32_e32 v58, v60
	v_add_f64 v[40:41], v[42:43], v[136:137]
	v_add_f64 v[34:35], v[34:35], v[134:135]
	v_mov_b32_e32 v59, v61
	v_mov_b32_e32 v60, v62
	v_mul_f64 v[106:107], v[205:206], s[36:37]
	v_fma_f64 v[22:23], v[193:194], s[26:27], -v[22:23]
	v_add_f64 v[32:33], v[32:33], v[98:99]
	v_mov_b32_e32 v61, v63
	v_add_f64 v[40:41], v[40:41], v[132:133]
	v_add_f64 v[34:35], v[34:35], v[122:123]
	v_mul_f64 v[122:123], v[152:153], s[58:59]
	v_mov_b32_e32 v62, v64
	v_mov_b32_e32 v63, v65
	;; [unrolled: 1-line block ×5, first 2 shown]
	v_add_f64 v[40:41], v[40:41], v[120:121]
	v_add_f64 v[34:35], v[34:35], v[114:115]
	v_fma_f64 v[120:121], v[177:178], s[28:29], v[100:101]
	v_fma_f64 v[100:101], v[177:178], s[28:29], -v[100:101]
	v_fma_f64 v[114:115], v[183:184], s[38:39], -v[118:119]
	v_fma_f64 v[98:99], v[191:192], s[26:27], v[122:123]
	v_mov_b32_e32 v67, v69
	v_mov_b32_e32 v68, v70
	v_add_f64 v[40:41], v[40:41], v[112:113]
	v_add_f64 v[34:35], v[34:35], v[110:111]
	v_add_f64 v[112:113], v[96:97], v[120:121]
	v_add_f64 v[96:97], v[96:97], v[100:101]
	v_mov_b32_e32 v69, v71
	v_mov_b32_e32 v70, v72
	;; [unrolled: 1-line block ×4, first 2 shown]
	v_add_f64 v[40:41], v[40:41], v[108:109]
	v_fma_f64 v[108:109], v[191:192], s[26:27], -v[122:123]
	v_add_f64 v[100:101], v[116:117], v[112:113]
	v_add_f64 v[96:97], v[114:115], v[96:97]
	v_mov_b32_e32 v73, v75
	v_mov_b32_e32 v74, v76
	;; [unrolled: 1-line block ×19, first 2 shown]
	v_add_f64 v[28:29], v[48:49], v[28:29]
	v_mul_f64 v[104:105], v[213:214], s[50:51]
	v_fma_f64 v[20:21], v[203:204], s[30:31], -v[20:21]
	v_add_f64 v[22:23], v[22:23], v[32:33]
	v_fma_f64 v[32:33], v[197:198], s[30:31], v[106:107]
	v_add_f64 v[92:93], v[98:99], v[100:101]
	v_fma_f64 v[94:95], v[197:198], s[30:31], -v[106:107]
	v_add_f64 v[96:97], v[108:109], v[96:97]
	v_add_f64 v[28:29], v[50:51], v[28:29]
	v_mul_f64 v[50:51], v[239:240], s[44:45]
	v_mul_f64 v[102:103], v[221:222], s[18:19]
	v_fma_f64 v[18:19], v[211:212], s[22:23], -v[18:19]
	v_add_f64 v[20:21], v[20:21], v[22:23]
	v_fma_f64 v[22:23], v[209:210], s[22:23], v[104:105]
	v_add_f64 v[32:33], v[32:33], v[92:93]
	v_fma_f64 v[92:93], v[209:210], s[22:23], -v[104:105]
	v_add_f64 v[94:95], v[94:95], v[96:97]
	v_mul_f64 v[48:49], v[235:236], s[42:43]
	v_fma_f64 v[38:39], v[229:230], s[28:29], -v[50:51]
	v_fma_f64 v[12:13], v[229:230], s[28:29], v[50:51]
	v_mul_f64 v[50:51], v[235:236], s[20:21]
	v_fma_f64 v[16:17], v[219:220], s[8:9], -v[16:17]
	s_waitcnt vmcnt(0)
	v_add_f64 v[34:35], v[34:35], v[54:55]
	v_add_f64 v[40:41], v[40:41], v[52:53]
	buffer_load_dword v52, off, s[64:67], 0 offset:64 ; 4-byte Folded Reload
	buffer_load_dword v53, off, s[64:67], 0 offset:68 ; 4-byte Folded Reload
	;; [unrolled: 1-line block ×4, first 2 shown]
	v_add_f64 v[18:19], v[18:19], v[20:21]
	v_fma_f64 v[20:21], v[215:216], s[8:9], v[102:103]
	v_add_f64 v[22:23], v[22:23], v[32:33]
	v_fma_f64 v[32:33], v[215:216], s[8:9], -v[102:103]
	v_add_f64 v[92:93], v[92:93], v[94:95]
	v_fma_f64 v[36:37], v[225:226], s[26:27], v[48:49]
	v_add_f64 v[28:29], v[241:242], v[28:29]
	v_fma_f64 v[243:244], v[225:226], s[26:27], -v[48:49]
	;; [unrolled: 4-line block ×3, first 2 shown]
	v_add_f64 v[32:33], v[32:33], v[92:93]
	v_add_f64 v[26:27], v[36:37], v[26:27]
	v_mul_f64 v[48:49], v[233:234], s[20:21]
	v_mul_f64 v[36:37], v[237:238], s[24:25]
	;; [unrolled: 1-line block ×3, first 2 shown]
	v_add_f64 v[30:31], v[243:244], v[30:31]
	v_add_f64 v[92:93], v[18:19], v[20:21]
	;; [unrolled: 1-line block ×5, first 2 shown]
	v_fma_f64 v[42:43], v[227:228], s[10:11], v[48:49]
	v_fma_f64 v[48:49], v[227:228], s[10:11], -v[48:49]
	v_fma_f64 v[50:51], v[231:232], s[16:17], -v[36:37]
	v_fma_f64 v[36:37], v[231:232], s[16:17], v[36:37]
	v_add_f64 v[24:25], v[38:39], v[30:31]
	v_add_f64 v[42:43], v[42:43], v[44:45]
	;; [unrolled: 1-line block ×3, first 2 shown]
	v_fma_f64 v[48:49], v[229:230], s[16:17], v[46:47]
	v_fma_f64 v[44:45], v[229:230], s[16:17], -v[46:47]
	v_add_f64 v[94:95], v[36:37], v[42:43]
	v_add_f64 v[18:19], v[50:51], v[16:17]
	;; [unrolled: 1-line block ×4, first 2 shown]
	s_waitcnt vmcnt(0)
	v_add_f64 v[34:35], v[34:35], v[54:55]
	v_add_f64 v[40:41], v[40:41], v[52:53]
	buffer_load_dword v52, off, s[64:67], 0 offset:48 ; 4-byte Folded Reload
	buffer_load_dword v53, off, s[64:67], 0 offset:52 ; 4-byte Folded Reload
	buffer_load_dword v54, off, s[64:67], 0 offset:56 ; 4-byte Folded Reload
	buffer_load_dword v55, off, s[64:67], 0 offset:60 ; 4-byte Folded Reload
	s_waitcnt vmcnt(0)
	v_add_f64 v[34:35], v[34:35], v[54:55]
	v_add_f64 v[40:41], v[40:41], v[52:53]
	buffer_load_dword v52, off, s[64:67], 0 offset:32 ; 4-byte Folded Reload
	buffer_load_dword v53, off, s[64:67], 0 offset:36 ; 4-byte Folded Reload
	buffer_load_dword v54, off, s[64:67], 0 offset:40 ; 4-byte Folded Reload
	buffer_load_dword v55, off, s[64:67], 0 offset:44 ; 4-byte Folded Reload
	;; [unrolled: 7-line block ×3, first 2 shown]
	buffer_load_dword v20, off, s[64:67], 0 ; 4-byte Folded Reload
	buffer_load_dword v21, off, s[64:67], 0 offset:4 ; 4-byte Folded Reload
	buffer_load_dword v22, off, s[64:67], 0 offset:8 ; 4-byte Folded Reload
	;; [unrolled: 1-line block ×5, first 2 shown]
	s_waitcnt vmcnt(6)
	v_add_f64 v[34:35], v[34:35], v[54:55]
	v_add_f64 v[40:41], v[40:41], v[52:53]
	s_waitcnt vmcnt(0)
	v_lshl_add_u32 v28, v29, 4, v28
	v_add_f64 v[22:23], v[34:35], v[22:23]
	v_add_f64 v[20:21], v[40:41], v[20:21]
	ds_write_b128 v28, v[20:23]
	ds_write_b128 v28, v[16:19] offset:16
	ds_write_b128 v28, v[12:15] offset:32
	;; [unrolled: 1-line block ×16, first 2 shown]
.LBB0_17:
	s_or_b64 exec, exec, s[48:49]
	s_waitcnt lgkmcnt(0)
	s_barrier
	ds_read_b128 v[8:11], v255
	ds_read_b128 v[4:7], v255 offset:816
	ds_read_b128 v[100:103], v255 offset:5984
	;; [unrolled: 1-line block ×8, first 2 shown]
	s_and_saveexec_b64 s[8:9], s[2:3]
	s_cbranch_execz .LBB0_19
; %bb.18:
	ds_read_b128 v[140:143], v255 offset:2448
	ds_read_b128 v[148:151], v255 offset:5440
	;; [unrolled: 1-line block ×3, first 2 shown]
.LBB0_19:
	s_or_b64 exec, exec, s[8:9]
	buffer_load_dword v114, off, s[64:67], 0 offset:188 ; 4-byte Folded Reload
	buffer_load_dword v115, off, s[64:67], 0 offset:192 ; 4-byte Folded Reload
	;; [unrolled: 1-line block ×12, first 2 shown]
	s_mov_b32 s8, 0xe8584caa
	s_mov_b32 s9, 0xbfebb67a
	;; [unrolled: 1-line block ×4, first 2 shown]
	s_waitcnt vmcnt(8) lgkmcnt(4)
	v_mul_f64 v[20:21], v[116:117], v[106:107]
	s_waitcnt vmcnt(4)
	v_mul_f64 v[22:23], v[46:47], v[102:103]
	v_mul_f64 v[26:27], v[46:47], v[100:101]
	buffer_load_dword v46, off, s[64:67], 0 offset:108 ; 4-byte Folded Reload
	buffer_load_dword v47, off, s[64:67], 0 offset:112 ; 4-byte Folded Reload
	;; [unrolled: 1-line block ×4, first 2 shown]
	s_waitcnt vmcnt(4) lgkmcnt(2)
	v_mul_f64 v[28:29], v[110:111], v[98:99]
	v_mul_f64 v[30:31], v[110:111], v[96:97]
	buffer_load_dword v110, off, s[64:67], 0 offset:156 ; 4-byte Folded Reload
	buffer_load_dword v111, off, s[64:67], 0 offset:160 ; 4-byte Folded Reload
	;; [unrolled: 1-line block ×4, first 2 shown]
	v_mul_f64 v[24:25], v[116:117], v[104:105]
	v_fma_f64 v[20:21], v[114:115], v[104:105], v[20:21]
	v_fma_f64 v[22:23], v[44:45], v[100:101], v[22:23]
	v_fma_f64 v[26:27], v[44:45], v[102:103], -v[26:27]
	v_fma_f64 v[28:29], v[108:109], v[96:97], v[28:29]
	v_fma_f64 v[30:31], v[108:109], v[98:99], -v[30:31]
	v_fma_f64 v[24:25], v[114:115], v[106:107], -v[24:25]
	v_add_f64 v[44:45], v[20:21], v[22:23]
	s_waitcnt vmcnt(4)
	v_mul_f64 v[32:33], v[48:49], v[18:19]
	v_mul_f64 v[34:35], v[48:49], v[16:17]
	buffer_load_dword v48, off, s[64:67], 0 offset:140 ; 4-byte Folded Reload
	buffer_load_dword v49, off, s[64:67], 0 offset:144 ; 4-byte Folded Reload
	;; [unrolled: 1-line block ×4, first 2 shown]
	s_waitcnt vmcnt(0) lgkmcnt(0)
	s_barrier
	v_mul_f64 v[36:37], v[112:113], v[94:95]
	v_mul_f64 v[38:39], v[112:113], v[92:93]
	v_fma_f64 v[32:33], v[46:47], v[16:17], v[32:33]
	v_fma_f64 v[34:35], v[46:47], v[18:19], -v[34:35]
	v_add_f64 v[46:47], v[24:25], v[26:27]
	v_add_f64 v[16:17], v[8:9], v[20:21]
	v_fma_f64 v[18:19], v[44:45], -0.5, v[8:9]
	v_add_f64 v[44:45], v[24:25], -v[26:27]
	v_add_f64 v[24:25], v[10:11], v[24:25]
	v_add_f64 v[20:21], v[20:21], -v[22:23]
	v_fma_f64 v[36:37], v[110:111], v[92:93], v[36:37]
	v_fma_f64 v[38:39], v[110:111], v[94:95], -v[38:39]
	v_fma_f64 v[46:47], v[46:47], -0.5, v[10:11]
	v_add_f64 v[8:9], v[16:17], v[22:23]
	v_add_f64 v[22:23], v[4:5], v[28:29]
	v_fma_f64 v[16:17], v[44:45], s[10:11], v[18:19]
	v_add_f64 v[10:11], v[24:25], v[26:27]
	v_add_f64 v[26:27], v[30:31], v[34:35]
	v_fma_f64 v[26:27], v[26:27], -0.5, v[6:7]
	v_mul_f64 v[42:43], v[50:51], v[12:13]
	v_mul_f64 v[40:41], v[50:51], v[14:15]
	v_add_f64 v[50:51], v[30:31], -v[34:35]
	v_add_f64 v[30:31], v[6:7], v[30:31]
	v_fma_f64 v[42:43], v[48:49], v[14:15], -v[42:43]
	v_add_f64 v[14:15], v[28:29], v[32:33]
	v_fma_f64 v[40:41], v[48:49], v[12:13], v[40:41]
	v_fma_f64 v[12:13], v[44:45], s[8:9], v[18:19]
	;; [unrolled: 1-line block ×3, first 2 shown]
	v_add_f64 v[28:29], v[28:29], -v[32:33]
	v_add_f64 v[6:7], v[30:31], v[34:35]
	v_add_f64 v[44:45], v[38:39], v[42:43]
	v_fma_f64 v[48:49], v[14:15], -0.5, v[4:5]
	v_fma_f64 v[14:15], v[20:21], s[10:11], v[46:47]
	ds_write_b128 v250, v[8:11]
	ds_write_b128 v250, v[12:15] offset:272
	ds_write_b128 v250, v[16:19] offset:544
	buffer_load_dword v8, off, s[64:67], 0 offset:220 ; 4-byte Folded Reload
	v_add_f64 v[4:5], v[22:23], v[32:33]
	v_add_f64 v[22:23], v[36:37], v[40:41]
	v_fma_f64 v[20:21], v[50:51], s[8:9], v[48:49]
	v_fma_f64 v[24:25], v[50:51], s[10:11], v[48:49]
	v_add_f64 v[32:33], v[0:1], v[36:37]
	v_add_f64 v[48:49], v[38:39], -v[42:43]
	v_add_f64 v[38:39], v[2:3], v[38:39]
	v_fma_f64 v[44:45], v[44:45], -0.5, v[2:3]
	v_add_f64 v[36:37], v[36:37], -v[40:41]
	v_fma_f64 v[46:47], v[22:23], -0.5, v[0:1]
	v_fma_f64 v[22:23], v[28:29], s[10:11], v[26:27]
	v_fma_f64 v[26:27], v[28:29], s[8:9], v[26:27]
	v_add_f64 v[0:1], v[32:33], v[40:41]
	s_waitcnt vmcnt(0)
	ds_write_b128 v8, v[4:7]
	ds_write_b128 v8, v[20:23] offset:272
	ds_write_b128 v8, v[24:27] offset:544
	buffer_load_dword v4, off, s[64:67], 0 offset:228 ; 4-byte Folded Reload
	v_add_f64 v[2:3], v[38:39], v[42:43]
	v_fma_f64 v[28:29], v[48:49], s[8:9], v[46:47]
	v_fma_f64 v[30:31], v[36:37], s[10:11], v[44:45]
	;; [unrolled: 1-line block ×4, first 2 shown]
	s_waitcnt vmcnt(0)
	ds_write_b128 v4, v[0:3]
	ds_write_b128 v4, v[28:31] offset:272
	ds_write_b128 v4, v[32:35] offset:544
	s_and_saveexec_b64 s[16:17], s[2:3]
	s_cbranch_execz .LBB0_21
; %bb.20:
	buffer_load_dword v12, off, s[64:67], 0 offset:252 ; 4-byte Folded Reload
	buffer_load_dword v13, off, s[64:67], 0 offset:256 ; 4-byte Folded Reload
	;; [unrolled: 1-line block ×8, first 2 shown]
	s_waitcnt vmcnt(4)
	v_mul_f64 v[0:1], v[14:15], v[148:149]
	s_waitcnt vmcnt(0)
	v_mul_f64 v[2:3], v[10:11], v[144:145]
	v_mul_f64 v[4:5], v[14:15], v[150:151]
	v_mul_f64 v[6:7], v[10:11], v[146:147]
	v_fma_f64 v[0:1], v[12:13], v[150:151], -v[0:1]
	v_fma_f64 v[2:3], v[8:9], v[146:147], -v[2:3]
	v_fma_f64 v[4:5], v[12:13], v[148:149], v[4:5]
	v_fma_f64 v[6:7], v[8:9], v[144:145], v[6:7]
	v_add_f64 v[14:15], v[142:143], v[0:1]
	v_add_f64 v[8:9], v[0:1], v[2:3]
	v_add_f64 v[16:17], v[0:1], -v[2:3]
	v_add_f64 v[10:11], v[4:5], v[6:7]
	v_add_f64 v[12:13], v[4:5], -v[6:7]
	v_add_f64 v[4:5], v[140:141], v[4:5]
	v_add_f64 v[2:3], v[14:15], v[2:3]
	v_fma_f64 v[8:9], v[8:9], -0.5, v[142:143]
	v_fma_f64 v[18:19], v[10:11], -0.5, v[140:141]
	v_add_f64 v[0:1], v[4:5], v[6:7]
	v_fma_f64 v[6:7], v[12:13], s[8:9], v[8:9]
	v_fma_f64 v[10:11], v[12:13], s[10:11], v[8:9]
	buffer_load_dword v12, off, s[64:67], 0 offset:100 ; 4-byte Folded Reload
	buffer_load_dword v13, off, s[64:67], 0 offset:80 ; 4-byte Folded Reload
	v_fma_f64 v[8:9], v[16:17], s[8:9], v[18:19]
	v_fma_f64 v[4:5], v[16:17], s[10:11], v[18:19]
	s_waitcnt vmcnt(1)
	v_add_u32_sdwa v12, v249, v12 dst_sel:DWORD dst_unused:UNUSED_PAD src0_sel:DWORD src1_sel:BYTE_0
	s_waitcnt vmcnt(0)
	v_lshl_add_u32 v12, v12, 4, v13
	ds_write_b128 v12, v[0:3]
	ds_write_b128 v12, v[8:11] offset:272
	ds_write_b128 v12, v[4:7] offset:544
.LBB0_21:
	s_or_b64 exec, exec, s[16:17]
	s_waitcnt lgkmcnt(0)
	s_barrier
	ds_read_b128 v[0:3], v255 offset:816
	ds_read_b128 v[8:11], v255 offset:2448
	;; [unrolled: 1-line block ×3, first 2 shown]
	s_mov_b32 s16, 0xf8bb580b
	s_mov_b32 s17, 0xbfe14ced
	s_waitcnt lgkmcnt(2)
	v_mul_f64 v[12:13], v[90:91], v[2:3]
	v_mul_f64 v[14:15], v[90:91], v[0:1]
	s_waitcnt lgkmcnt(1)
	v_mul_f64 v[20:21], v[66:67], v[10:11]
	v_mul_f64 v[22:23], v[66:67], v[8:9]
	s_mov_b32 s10, 0x8764f0ba
	s_mov_b32 s2, 0x8eee2c13
	s_mov_b32 s8, 0xd9c712b6
	s_mov_b32 s20, 0x43842ef
	v_fma_f64 v[28:29], v[88:89], v[0:1], v[12:13]
	v_fma_f64 v[30:31], v[88:89], v[2:3], -v[14:15]
	ds_read_b128 v[12:15], v255
	s_waitcnt lgkmcnt(1)
	v_mul_f64 v[16:17], v[82:83], v[6:7]
	v_mul_f64 v[18:19], v[82:83], v[4:5]
	ds_read_b128 v[0:3], v255 offset:3264
	v_fma_f64 v[36:37], v[64:65], v[8:9], v[20:21]
	v_fma_f64 v[38:39], v[64:65], v[10:11], -v[22:23]
	s_mov_b32 s24, 0x640f44db
	s_mov_b32 s28, 0xbb3a28a1
	;; [unrolled: 1-line block ×3, first 2 shown]
	v_fma_f64 v[32:33], v[80:81], v[4:5], v[16:17]
	v_fma_f64 v[34:35], v[80:81], v[6:7], -v[18:19]
	ds_read_b128 v[4:7], v255 offset:4080
	s_waitcnt lgkmcnt(2)
	v_add_f64 v[16:17], v[12:13], v[28:29]
	v_add_f64 v[18:19], v[14:15], v[30:31]
	s_waitcnt lgkmcnt(1)
	v_mul_f64 v[24:25], v[58:59], v[2:3]
	v_mul_f64 v[26:27], v[58:59], v[0:1]
	s_waitcnt lgkmcnt(0)
	v_mul_f64 v[40:41], v[86:87], v[6:7]
	v_mul_f64 v[42:43], v[86:87], v[4:5]
	s_mov_b32 s36, 0xfd768dbf
	s_mov_b32 s38, 0x9bcd5057
	v_add_f64 v[20:21], v[16:17], v[32:33]
	v_add_f64 v[22:23], v[18:19], v[34:35]
	ds_read_b128 v[8:11], v255 offset:4896
	ds_read_b128 v[16:19], v255 offset:5712
	v_fma_f64 v[44:45], v[56:57], v[0:1], v[24:25]
	v_fma_f64 v[46:47], v[56:57], v[2:3], -v[26:27]
	v_fma_f64 v[4:5], v[84:85], v[4:5], v[40:41]
	s_waitcnt lgkmcnt(1)
	v_mul_f64 v[56:57], v[70:71], v[10:11]
	v_mul_f64 v[58:59], v[70:71], v[8:9]
	v_add_f64 v[48:49], v[20:21], v[36:37]
	v_add_f64 v[50:51], v[22:23], v[38:39]
	ds_read_b128 v[0:3], v255 offset:6528
	ds_read_b128 v[20:23], v255 offset:7344
	;; [unrolled: 1-line block ×3, first 2 shown]
	buffer_load_dword v52, off, s[64:67], 0 offset:204 ; 4-byte Folded Reload
	buffer_load_dword v53, off, s[64:67], 0 offset:208 ; 4-byte Folded Reload
	;; [unrolled: 1-line block ×4, first 2 shown]
	v_fma_f64 v[6:7], v[84:85], v[6:7], -v[42:43]
	s_mov_b32 s11, 0x3feaeb8c
	v_fma_f64 v[8:9], v[68:69], v[8:9], v[56:57]
	v_fma_f64 v[10:11], v[68:69], v[10:11], -v[58:59]
	v_add_f64 v[40:41], v[48:49], v[44:45]
	v_add_f64 v[42:43], v[50:51], v[46:47]
	s_waitcnt lgkmcnt(3)
	v_mul_f64 v[48:49], v[62:63], v[18:19]
	v_mul_f64 v[50:51], v[62:63], v[16:17]
	s_waitcnt lgkmcnt(0)
	v_mul_f64 v[56:57], v[78:79], v[24:25]
	s_mov_b32 s3, 0xbfed1bb4
	s_mov_b32 s9, 0x3fda9628
	;; [unrolled: 1-line block ×3, first 2 shown]
	v_add_f64 v[40:41], v[40:41], v[4:5]
	v_add_f64 v[42:43], v[42:43], v[6:7]
	v_fma_f64 v[16:17], v[60:61], v[16:17], v[48:49]
	v_fma_f64 v[18:19], v[60:61], v[18:19], -v[50:51]
	v_mul_f64 v[48:49], v[78:79], v[26:27]
	v_fma_f64 v[26:27], v[76:77], v[26:27], -v[56:57]
	v_mul_f64 v[50:51], v[74:75], v[22:23]
	v_mul_f64 v[56:57], v[74:75], v[20:21]
	v_add_f64 v[40:41], v[40:41], v[8:9]
	v_add_f64 v[42:43], v[42:43], v[10:11]
	s_mov_b32 s25, 0xbfc2375f
	s_mov_b32 s29, 0xbfe82f19
	v_fma_f64 v[24:25], v[76:77], v[24:25], v[48:49]
	s_mov_b32 s31, 0xbfe4f49e
	v_fma_f64 v[20:21], v[72:73], v[20:21], v[50:51]
	v_fma_f64 v[22:23], v[72:73], v[22:23], -v[56:57]
	s_mov_b32 s37, 0xbfd207e7
	s_mov_b32 s39, 0xbfeeb42a
	;; [unrolled: 1-line block ×7, first 2 shown]
	v_add_f64 v[80:81], v[34:35], -v[22:23]
	s_mov_b32 s26, s20
	s_mov_b32 s35, 0x3fe82f19
	;; [unrolled: 1-line block ×5, first 2 shown]
	v_add_f64 v[84:85], v[32:33], v[20:21]
	s_and_b64 s[0:1], exec, s[0:1]
	s_waitcnt vmcnt(0)
	v_mul_f64 v[58:59], v[54:55], v[2:3]
	v_mul_f64 v[54:55], v[54:55], v[0:1]
	v_fma_f64 v[58:59], v[52:53], v[0:1], v[58:59]
	v_fma_f64 v[52:53], v[52:53], v[2:3], -v[54:55]
	v_add_f64 v[0:1], v[40:41], v[16:17]
	v_add_f64 v[2:3], v[42:43], v[18:19]
	v_add_f64 v[40:41], v[30:31], -v[26:27]
	v_add_f64 v[30:31], v[30:31], v[26:27]
	v_add_f64 v[42:43], v[28:29], v[24:25]
	v_add_f64 v[28:29], v[28:29], -v[24:25]
	v_add_f64 v[0:1], v[0:1], v[58:59]
	v_add_f64 v[2:3], v[2:3], v[52:53]
	v_mul_f64 v[48:49], v[40:41], s[16:17]
	v_mul_f64 v[50:51], v[30:31], s[10:11]
	;; [unrolled: 1-line block ×6, first 2 shown]
	v_add_f64 v[0:1], v[0:1], v[20:21]
	v_add_f64 v[2:3], v[2:3], v[22:23]
	v_fma_f64 v[54:55], v[42:43], s[10:11], v[48:49]
	v_mul_f64 v[70:71], v[40:41], s[28:29]
	v_mul_f64 v[72:73], v[30:31], s[30:31]
	;; [unrolled: 1-line block ×4, first 2 shown]
	v_add_f64 v[22:23], v[34:35], v[22:23]
	v_fma_f64 v[62:63], v[28:29], s[22:23], v[50:51]
	v_add_f64 v[0:1], v[0:1], v[24:25]
	v_add_f64 v[2:3], v[2:3], v[26:27]
	v_fma_f64 v[24:25], v[42:43], s[10:11], -v[48:49]
	v_add_f64 v[26:27], v[12:13], v[54:55]
	v_fma_f64 v[48:49], v[28:29], s[16:17], v[50:51]
	v_fma_f64 v[54:55], v[28:29], s[18:19], v[60:61]
	;; [unrolled: 1-line block ×9, first 2 shown]
	v_add_f64 v[20:21], v[32:33], -v[20:21]
	v_mul_f64 v[32:33], v[80:81], s[2:3]
	v_mul_f64 v[86:87], v[22:23], s[8:9]
	v_fma_f64 v[28:29], v[28:29], s[36:37], v[30:31]
	v_fma_f64 v[50:51], v[42:43], s[8:9], v[56:57]
	v_add_f64 v[62:63], v[14:15], v[62:63]
	v_add_f64 v[24:25], v[12:13], v[24:25]
	;; [unrolled: 1-line block ×4, first 2 shown]
	v_fma_f64 v[56:57], v[42:43], s[8:9], -v[56:57]
	v_fma_f64 v[66:67], v[42:43], s[24:25], v[64:65]
	v_fma_f64 v[64:65], v[42:43], s[24:25], -v[64:65]
	v_fma_f64 v[76:77], v[42:43], s[30:31], v[70:71]
	v_add_f64 v[60:61], v[14:15], v[60:61]
	v_add_f64 v[74:75], v[14:15], v[74:75]
	;; [unrolled: 1-line block ×4, first 2 shown]
	v_fma_f64 v[70:71], v[42:43], s[30:31], -v[70:71]
	v_add_f64 v[72:73], v[14:15], v[72:73]
	v_fma_f64 v[40:41], v[42:43], s[38:39], -v[40:41]
	v_add_f64 v[30:31], v[12:13], v[34:35]
	v_add_f64 v[34:35], v[14:15], v[82:83]
	v_mul_f64 v[42:43], v[80:81], s[28:29]
	v_mul_f64 v[82:83], v[22:23], s[30:31]
	v_fma_f64 v[88:89], v[84:85], s[8:9], v[32:33]
	v_fma_f64 v[90:91], v[20:21], s[18:19], v[86:87]
	v_add_f64 v[14:15], v[14:15], v[28:29]
	v_fma_f64 v[28:29], v[84:85], s[8:9], -v[32:33]
	v_fma_f64 v[32:33], v[20:21], s[2:3], v[86:87]
	v_add_f64 v[50:51], v[12:13], v[50:51]
	v_add_f64 v[56:57], v[12:13], v[56:57]
	;; [unrolled: 1-line block ×7, first 2 shown]
	v_fma_f64 v[40:41], v[84:85], s[30:31], v[42:43]
	v_fma_f64 v[86:87], v[20:21], s[34:35], v[82:83]
	v_add_f64 v[26:27], v[88:89], v[26:27]
	v_add_f64 v[62:63], v[90:91], v[62:63]
	v_mul_f64 v[88:89], v[80:81], s[40:41]
	v_mul_f64 v[90:91], v[22:23], s[38:39]
	v_add_f64 v[24:25], v[28:29], v[24:25]
	v_add_f64 v[28:29], v[32:33], v[48:49]
	v_fma_f64 v[42:43], v[84:85], s[30:31], -v[42:43]
	v_fma_f64 v[48:49], v[20:21], s[28:29], v[82:83]
	v_mul_f64 v[82:83], v[80:81], s[26:27]
	v_add_f64 v[32:33], v[40:41], v[50:51]
	v_add_f64 v[40:41], v[86:87], v[54:55]
	v_fma_f64 v[50:51], v[84:85], s[38:39], v[88:89]
	v_fma_f64 v[54:55], v[20:21], s[36:37], v[90:91]
	v_mul_f64 v[86:87], v[22:23], s[24:25]
	v_fma_f64 v[90:91], v[20:21], s[40:41], v[90:91]
	v_add_f64 v[42:43], v[42:43], v[56:57]
	v_fma_f64 v[56:57], v[84:85], s[24:25], v[82:83]
	v_mul_f64 v[80:81], v[80:81], s[22:23]
	v_mul_f64 v[22:23], v[22:23], s[10:11]
	v_add_f64 v[50:51], v[50:51], v[66:67]
	v_add_f64 v[54:55], v[54:55], v[74:75]
	v_fma_f64 v[74:75], v[20:21], s[26:27], v[86:87]
	v_add_f64 v[66:67], v[90:91], v[68:69]
	v_fma_f64 v[68:69], v[84:85], s[24:25], -v[82:83]
	v_add_f64 v[56:57], v[56:57], v[76:77]
	v_add_f64 v[76:77], v[38:39], -v[52:53]
	v_add_f64 v[48:49], v[48:49], v[60:61]
	v_fma_f64 v[60:61], v[20:21], s[20:21], v[86:87]
	v_add_f64 v[38:39], v[38:39], v[52:53]
	v_fma_f64 v[88:89], v[84:85], s[38:39], -v[88:89]
	v_add_f64 v[52:53], v[68:69], v[70:71]
	v_add_f64 v[68:69], v[74:75], v[72:73]
	v_fma_f64 v[70:71], v[84:85], s[10:11], v[80:81]
	v_fma_f64 v[72:73], v[20:21], s[16:17], v[22:23]
	v_add_f64 v[74:75], v[36:37], v[58:59]
	v_add_f64 v[36:37], v[36:37], -v[58:59]
	v_mul_f64 v[58:59], v[76:77], s[20:21]
	v_add_f64 v[60:61], v[60:61], v[78:79]
	v_mul_f64 v[78:79], v[38:39], s[24:25]
	v_fma_f64 v[20:21], v[20:21], s[22:23], v[22:23]
	v_add_f64 v[22:23], v[70:71], v[30:31]
	v_add_f64 v[30:31], v[72:73], v[34:35]
	v_mul_f64 v[34:35], v[76:77], s[40:41]
	v_fma_f64 v[80:81], v[84:85], s[10:11], -v[80:81]
	v_fma_f64 v[72:73], v[74:75], s[24:25], v[58:59]
	v_mul_f64 v[70:71], v[38:39], s[38:39]
	v_fma_f64 v[82:83], v[36:37], s[26:27], v[78:79]
	v_add_f64 v[14:15], v[20:21], v[14:15]
	v_fma_f64 v[20:21], v[74:75], s[24:25], -v[58:59]
	v_fma_f64 v[58:59], v[36:37], s[20:21], v[78:79]
	v_fma_f64 v[78:79], v[74:75], s[38:39], v[34:35]
	v_add_f64 v[12:13], v[80:81], v[12:13]
	v_add_f64 v[26:27], v[72:73], v[26:27]
	v_mul_f64 v[72:73], v[76:77], s[18:19]
	v_fma_f64 v[80:81], v[36:37], s[36:37], v[70:71]
	v_add_f64 v[62:63], v[82:83], v[62:63]
	v_mul_f64 v[82:83], v[38:39], s[8:9]
	v_add_f64 v[20:21], v[20:21], v[24:25]
	v_add_f64 v[24:25], v[58:59], v[28:29]
	v_add_f64 v[28:29], v[78:79], v[32:33]
	v_fma_f64 v[34:35], v[74:75], s[38:39], -v[34:35]
	v_fma_f64 v[58:59], v[74:75], s[8:9], v[72:73]
	v_mul_f64 v[78:79], v[76:77], s[16:17]
	v_add_f64 v[64:65], v[88:89], v[64:65]
	v_add_f64 v[32:33], v[80:81], v[40:41]
	v_fma_f64 v[40:41], v[36:37], s[40:41], v[70:71]
	v_fma_f64 v[70:71], v[36:37], s[2:3], v[82:83]
	v_fma_f64 v[72:73], v[74:75], s[8:9], -v[72:73]
	v_fma_f64 v[82:83], v[36:37], s[18:19], v[82:83]
	v_add_f64 v[34:35], v[34:35], v[42:43]
	v_add_f64 v[42:43], v[58:59], v[50:51]
	v_fma_f64 v[50:51], v[74:75], s[10:11], v[78:79]
	v_mul_f64 v[80:81], v[38:39], s[10:11]
	v_add_f64 v[40:41], v[40:41], v[48:49]
	v_add_f64 v[48:49], v[70:71], v[54:55]
	;; [unrolled: 1-line block ×4, first 2 shown]
	v_mul_f64 v[66:67], v[76:77], s[28:29]
	v_fma_f64 v[70:71], v[74:75], s[10:11], -v[78:79]
	v_add_f64 v[50:51], v[50:51], v[56:57]
	v_add_f64 v[56:57], v[46:47], -v[18:19]
	v_fma_f64 v[54:55], v[36:37], s[22:23], v[80:81]
	v_mul_f64 v[38:39], v[38:39], s[30:31]
	v_fma_f64 v[72:73], v[36:37], s[16:17], v[80:81]
	v_add_f64 v[18:19], v[46:47], v[18:19]
	v_fma_f64 v[46:47], v[74:75], s[30:31], v[66:67]
	v_add_f64 v[52:53], v[70:71], v[52:53]
	v_add_f64 v[70:71], v[44:45], v[16:17]
	v_add_f64 v[16:17], v[44:45], -v[16:17]
	v_mul_f64 v[44:45], v[56:57], s[28:29]
	v_add_f64 v[54:55], v[54:55], v[60:61]
	v_fma_f64 v[60:61], v[36:37], s[34:35], v[38:39]
	v_add_f64 v[68:69], v[72:73], v[68:69]
	v_mul_f64 v[72:73], v[18:19], s[30:31]
	v_add_f64 v[22:23], v[46:47], v[22:23]
	v_fma_f64 v[46:47], v[74:75], s[30:31], -v[66:67]
	v_fma_f64 v[36:37], v[36:37], s[28:29], v[38:39]
	v_fma_f64 v[66:67], v[70:71], s[30:31], v[44:45]
	v_fma_f64 v[44:45], v[70:71], s[30:31], -v[44:45]
	v_add_f64 v[30:31], v[60:61], v[30:31]
	v_mul_f64 v[38:39], v[56:57], s[26:27]
	v_mul_f64 v[60:61], v[18:19], s[24:25]
	v_fma_f64 v[74:75], v[16:17], s[34:35], v[72:73]
	v_fma_f64 v[72:73], v[16:17], s[28:29], v[72:73]
	v_add_f64 v[12:13], v[46:47], v[12:13]
	v_add_f64 v[14:15], v[36:37], v[14:15]
	;; [unrolled: 1-line block ×3, first 2 shown]
	v_mul_f64 v[44:45], v[56:57], s[16:17]
	v_fma_f64 v[36:37], v[70:71], s[24:25], v[38:39]
	v_fma_f64 v[46:47], v[16:17], s[20:21], v[60:61]
	v_add_f64 v[26:27], v[66:67], v[26:27]
	v_add_f64 v[24:25], v[72:73], v[24:25]
	v_mul_f64 v[66:67], v[18:19], s[10:11]
	v_fma_f64 v[38:39], v[70:71], s[24:25], -v[38:39]
	v_fma_f64 v[60:61], v[16:17], s[26:27], v[60:61]
	v_fma_f64 v[72:73], v[70:71], s[10:11], v[44:45]
	v_fma_f64 v[44:45], v[70:71], s[10:11], -v[44:45]
	v_add_f64 v[62:63], v[74:75], v[62:63]
	v_add_f64 v[28:29], v[36:37], v[28:29]
	;; [unrolled: 1-line block ×3, first 2 shown]
	v_mul_f64 v[36:37], v[56:57], s[36:37]
	v_mul_f64 v[46:47], v[18:19], s[38:39]
	v_fma_f64 v[74:75], v[16:17], s[22:23], v[66:67]
	v_fma_f64 v[66:67], v[16:17], s[16:17], v[66:67]
	v_add_f64 v[34:35], v[38:39], v[34:35]
	v_add_f64 v[38:39], v[60:61], v[40:41]
	;; [unrolled: 1-line block ×3, first 2 shown]
	v_add_f64 v[58:59], v[6:7], -v[10:11]
	v_add_f64 v[60:61], v[6:7], v[10:11]
	v_mul_f64 v[6:7], v[56:57], s[18:19]
	v_mul_f64 v[10:11], v[18:19], s[8:9]
	v_fma_f64 v[76:77], v[70:71], s[38:39], v[36:37]
	v_fma_f64 v[78:79], v[16:17], s[40:41], v[46:47]
	v_add_f64 v[40:41], v[72:73], v[42:43]
	v_add_f64 v[42:43], v[74:75], v[48:49]
	;; [unrolled: 1-line block ×3, first 2 shown]
	v_fma_f64 v[18:19], v[70:71], s[38:39], -v[36:37]
	v_fma_f64 v[36:37], v[16:17], s[36:37], v[46:47]
	v_add_f64 v[46:47], v[4:5], v[8:9]
	v_add_f64 v[56:57], v[4:5], -v[8:9]
	v_mul_f64 v[8:9], v[58:59], s[36:37]
	v_fma_f64 v[4:5], v[70:71], s[8:9], v[6:7]
	v_fma_f64 v[66:67], v[16:17], s[2:3], v[10:11]
	v_mul_f64 v[64:65], v[60:61], s[38:39]
	v_fma_f64 v[6:7], v[70:71], s[8:9], -v[6:7]
	v_add_f64 v[68:69], v[36:37], v[68:69]
	v_fma_f64 v[10:11], v[16:17], s[18:19], v[10:11]
	v_add_f64 v[52:53], v[18:19], v[52:53]
	v_fma_f64 v[16:17], v[46:47], s[38:39], v[8:9]
	v_add_f64 v[36:37], v[4:5], v[22:23]
	v_add_f64 v[66:67], v[66:67], v[30:31]
	v_mul_f64 v[22:23], v[58:59], s[22:23]
	v_mul_f64 v[30:31], v[60:61], s[10:11]
	v_fma_f64 v[18:19], v[56:57], s[40:41], v[64:65]
	v_add_f64 v[70:71], v[6:7], v[12:13]
	v_add_f64 v[72:73], v[10:11], v[14:15]
	;; [unrolled: 1-line block ×3, first 2 shown]
	v_fma_f64 v[8:9], v[46:47], s[38:39], -v[8:9]
	v_fma_f64 v[10:11], v[56:57], s[36:37], v[64:65]
	v_fma_f64 v[12:13], v[46:47], s[10:11], v[22:23]
	;; [unrolled: 1-line block ×3, first 2 shown]
	v_mul_f64 v[26:27], v[58:59], s[28:29]
	v_fma_f64 v[16:17], v[46:47], s[10:11], -v[22:23]
	v_mul_f64 v[22:23], v[60:61], s[30:31]
	v_add_f64 v[6:7], v[18:19], v[62:63]
	v_fma_f64 v[18:19], v[56:57], s[22:23], v[30:31]
	v_add_f64 v[8:9], v[8:9], v[20:21]
	v_add_f64 v[10:11], v[10:11], v[24:25]
	;; [unrolled: 1-line block ×4, first 2 shown]
	v_fma_f64 v[20:21], v[46:47], s[30:31], v[26:27]
	v_fma_f64 v[24:25], v[56:57], s[34:35], v[22:23]
	v_fma_f64 v[26:27], v[46:47], s[30:31], -v[26:27]
	v_fma_f64 v[28:29], v[56:57], s[28:29], v[22:23]
	v_mul_f64 v[30:31], v[58:59], s[18:19]
	v_mul_f64 v[32:33], v[60:61], s[8:9]
	v_add_f64 v[16:17], v[16:17], v[34:35]
	v_add_f64 v[18:19], v[18:19], v[38:39]
	v_mul_f64 v[34:35], v[58:59], s[20:21]
	v_mul_f64 v[38:39], v[60:61], s[24:25]
	v_add_f64 v[50:51], v[76:77], v[50:51]
	v_add_f64 v[54:55], v[78:79], v[54:55]
	v_add_f64 v[20:21], v[20:21], v[40:41]
	v_add_f64 v[22:23], v[24:25], v[42:43]
	v_add_f64 v[24:25], v[26:27], v[44:45]
	v_add_f64 v[26:27], v[28:29], v[48:49]
	v_fma_f64 v[28:29], v[46:47], s[8:9], v[30:31]
	v_fma_f64 v[40:41], v[56:57], s[2:3], v[32:33]
	;; [unrolled: 1-line block ×4, first 2 shown]
	v_fma_f64 v[42:43], v[46:47], s[8:9], -v[30:31]
	v_fma_f64 v[34:35], v[46:47], s[24:25], -v[34:35]
	v_fma_f64 v[46:47], v[56:57], s[20:21], v[38:39]
	v_fma_f64 v[56:57], v[56:57], s[18:19], v[32:33]
	v_add_f64 v[28:29], v[28:29], v[50:51]
	v_add_f64 v[30:31], v[40:41], v[54:55]
	;; [unrolled: 1-line block ×8, first 2 shown]
	ds_write_b128 v176, v[0:3]
	ds_write_b128 v176, v[4:7] offset:816
	ds_write_b128 v176, v[12:15] offset:1632
	;; [unrolled: 1-line block ×10, first 2 shown]
	s_waitcnt lgkmcnt(0)
	s_barrier
	buffer_load_dword v18, off, s[64:67], 0 offset:84 ; 4-byte Folded Reload
	buffer_load_dword v19, off, s[64:67], 0 offset:88 ; 4-byte Folded Reload
	s_mov_b64 exec, s[0:1]
	s_cbranch_execz .LBB0_23
; %bb.22:
	v_lshlrev_b32_e32 v21, 4, v187
	global_load_dwordx4 v[0:3], v21, s[12:13]
	ds_read_b128 v[4:7], v176
	ds_read_b128 v[8:11], v176 offset:528
	s_waitcnt vmcnt(2)
	v_mad_u64_u32 v[12:13], s[0:1], s6, v18, 0
	v_mad_u64_u32 v[14:15], s[0:1], s4, v187, 0
	s_mul_i32 s3, s5, 0x210
	s_mul_i32 s2, s4, 0x210
	s_waitcnt vmcnt(1)
	v_mad_u64_u32 v[18:19], s[0:1], s7, v18, v[13:14]
	v_mov_b32_e32 v13, v18
	s_waitcnt vmcnt(0) lgkmcnt(1)
	v_mul_f64 v[16:17], v[6:7], v[2:3]
	v_mul_f64 v[2:3], v[4:5], v[2:3]
	v_fma_f64 v[4:5], v[4:5], v[0:1], v[16:17]
	v_fma_f64 v[2:3], v[0:1], v[6:7], -v[2:3]
	v_mad_u64_u32 v[19:20], s[0:1], s5, v187, v[15:16]
	s_mov_b32 s0, 0x4bc01d34
	s_mov_b32 s1, 0x3f5d347a
	v_lshlrev_b64 v[6:7], 4, v[12:13]
	v_mov_b32_e32 v15, v19
	v_mul_f64 v[0:1], v[4:5], s[0:1]
	v_mul_f64 v[2:3], v[2:3], s[0:1]
	v_mov_b32_e32 v16, s15
	v_lshlrev_b64 v[12:13], 4, v[14:15]
	v_add_co_u32_e32 v4, vcc, s14, v6
	v_addc_co_u32_e32 v5, vcc, v16, v7, vcc
	v_add_co_u32_e32 v4, vcc, v4, v12
	v_addc_co_u32_e32 v5, vcc, v5, v13, vcc
	global_store_dwordx4 v[4:5], v[0:3], off
	global_load_dwordx4 v[0:3], v21, s[12:13] offset:528
	s_mul_hi_u32 s5, s4, 0x210
	s_add_i32 s3, s5, s3
	v_add_co_u32_e32 v12, vcc, s2, v4
	s_movk_i32 s4, 0x1000
	s_waitcnt vmcnt(0) lgkmcnt(0)
	v_mul_f64 v[6:7], v[10:11], v[2:3]
	v_mul_f64 v[2:3], v[8:9], v[2:3]
	v_fma_f64 v[6:7], v[8:9], v[0:1], v[6:7]
	v_fma_f64 v[2:3], v[0:1], v[10:11], -v[2:3]
	v_mul_f64 v[0:1], v[6:7], s[0:1]
	v_mul_f64 v[2:3], v[2:3], s[0:1]
	v_mov_b32_e32 v6, s3
	v_addc_co_u32_e32 v13, vcc, v5, v6, vcc
	global_store_dwordx4 v[12:13], v[0:3], off
	global_load_dwordx4 v[0:3], v21, s[12:13] offset:1056
	ds_read_b128 v[4:7], v176 offset:1056
	ds_read_b128 v[8:11], v176 offset:1584
	s_waitcnt vmcnt(0) lgkmcnt(1)
	v_mul_f64 v[14:15], v[6:7], v[2:3]
	v_mul_f64 v[2:3], v[4:5], v[2:3]
	v_fma_f64 v[4:5], v[4:5], v[0:1], v[14:15]
	v_fma_f64 v[2:3], v[0:1], v[6:7], -v[2:3]
	v_mul_f64 v[0:1], v[4:5], s[0:1]
	v_mul_f64 v[2:3], v[2:3], s[0:1]
	v_mov_b32_e32 v5, s3
	v_add_co_u32_e32 v4, vcc, s2, v12
	v_addc_co_u32_e32 v5, vcc, v13, v5, vcc
	v_add_co_u32_e32 v12, vcc, s2, v4
	global_store_dwordx4 v[4:5], v[0:3], off
	global_load_dwordx4 v[0:3], v21, s[12:13] offset:1584
	s_waitcnt vmcnt(0) lgkmcnt(0)
	v_mul_f64 v[6:7], v[10:11], v[2:3]
	v_mul_f64 v[2:3], v[8:9], v[2:3]
	v_fma_f64 v[6:7], v[8:9], v[0:1], v[6:7]
	v_fma_f64 v[2:3], v[0:1], v[10:11], -v[2:3]
	v_mul_f64 v[0:1], v[6:7], s[0:1]
	v_mul_f64 v[2:3], v[2:3], s[0:1]
	v_mov_b32_e32 v6, s3
	v_addc_co_u32_e32 v13, vcc, v5, v6, vcc
	global_store_dwordx4 v[12:13], v[0:3], off
	global_load_dwordx4 v[0:3], v21, s[12:13] offset:2112
	ds_read_b128 v[4:7], v176 offset:2112
	ds_read_b128 v[8:11], v176 offset:2640
	s_waitcnt vmcnt(0) lgkmcnt(1)
	v_mul_f64 v[14:15], v[6:7], v[2:3]
	v_mul_f64 v[2:3], v[4:5], v[2:3]
	v_fma_f64 v[4:5], v[4:5], v[0:1], v[14:15]
	v_fma_f64 v[2:3], v[0:1], v[6:7], -v[2:3]
	v_mul_f64 v[0:1], v[4:5], s[0:1]
	v_mul_f64 v[2:3], v[2:3], s[0:1]
	v_mov_b32_e32 v5, s3
	v_add_co_u32_e32 v4, vcc, s2, v12
	v_addc_co_u32_e32 v5, vcc, v13, v5, vcc
	v_add_co_u32_e32 v12, vcc, s2, v4
	global_store_dwordx4 v[4:5], v[0:3], off
	global_load_dwordx4 v[0:3], v21, s[12:13] offset:2640
	s_waitcnt vmcnt(0) lgkmcnt(0)
	v_mul_f64 v[6:7], v[10:11], v[2:3]
	v_mul_f64 v[2:3], v[8:9], v[2:3]
	v_fma_f64 v[6:7], v[8:9], v[0:1], v[6:7]
	v_fma_f64 v[2:3], v[0:1], v[10:11], -v[2:3]
	v_mul_f64 v[0:1], v[6:7], s[0:1]
	v_mul_f64 v[2:3], v[2:3], s[0:1]
	v_mov_b32_e32 v6, s3
	v_addc_co_u32_e32 v13, vcc, v5, v6, vcc
	global_store_dwordx4 v[12:13], v[0:3], off
	global_load_dwordx4 v[0:3], v21, s[12:13] offset:3168
	ds_read_b128 v[4:7], v176 offset:3168
	ds_read_b128 v[8:11], v176 offset:3696
	s_waitcnt vmcnt(0) lgkmcnt(1)
	v_mul_f64 v[14:15], v[6:7], v[2:3]
	v_mul_f64 v[2:3], v[4:5], v[2:3]
	v_fma_f64 v[4:5], v[4:5], v[0:1], v[14:15]
	v_fma_f64 v[2:3], v[0:1], v[6:7], -v[2:3]
	v_mul_f64 v[0:1], v[4:5], s[0:1]
	v_mul_f64 v[2:3], v[2:3], s[0:1]
	v_mov_b32_e32 v5, s3
	v_add_co_u32_e32 v4, vcc, s2, v12
	v_addc_co_u32_e32 v5, vcc, v13, v5, vcc
	v_mov_b32_e32 v12, s13
	v_add_co_u32_e32 v18, vcc, s12, v21
	global_store_dwordx4 v[4:5], v[0:3], off
	global_load_dwordx4 v[0:3], v21, s[12:13] offset:3696
	v_addc_co_u32_e32 v19, vcc, 0, v12, vcc
	v_add_co_u32_e32 v12, vcc, s4, v18
	v_addc_co_u32_e32 v13, vcc, 0, v19, vcc
	v_add_co_u32_e32 v14, vcc, s2, v4
	s_movk_i32 s4, 0x2000
	s_waitcnt vmcnt(0) lgkmcnt(0)
	v_mul_f64 v[6:7], v[10:11], v[2:3]
	v_mul_f64 v[2:3], v[8:9], v[2:3]
	v_fma_f64 v[6:7], v[8:9], v[0:1], v[6:7]
	v_fma_f64 v[2:3], v[0:1], v[10:11], -v[2:3]
	v_mov_b32_e32 v8, s3
	v_addc_co_u32_e32 v15, vcc, v5, v8, vcc
	v_mul_f64 v[0:1], v[6:7], s[0:1]
	v_mul_f64 v[2:3], v[2:3], s[0:1]
	global_store_dwordx4 v[14:15], v[0:3], off
	global_load_dwordx4 v[0:3], v[12:13], off offset:128
	ds_read_b128 v[4:7], v176 offset:4224
	ds_read_b128 v[8:11], v176 offset:4752
	s_waitcnt vmcnt(0) lgkmcnt(1)
	v_mul_f64 v[16:17], v[6:7], v[2:3]
	v_mul_f64 v[2:3], v[4:5], v[2:3]
	v_fma_f64 v[4:5], v[4:5], v[0:1], v[16:17]
	v_fma_f64 v[2:3], v[0:1], v[6:7], -v[2:3]
	v_mul_f64 v[0:1], v[4:5], s[0:1]
	v_mul_f64 v[2:3], v[2:3], s[0:1]
	v_mov_b32_e32 v5, s3
	v_add_co_u32_e32 v4, vcc, s2, v14
	v_addc_co_u32_e32 v5, vcc, v15, v5, vcc
	v_add_co_u32_e32 v14, vcc, s2, v4
	global_store_dwordx4 v[4:5], v[0:3], off
	global_load_dwordx4 v[0:3], v[12:13], off offset:656
	s_waitcnt vmcnt(0) lgkmcnt(0)
	v_mul_f64 v[6:7], v[10:11], v[2:3]
	v_mul_f64 v[2:3], v[8:9], v[2:3]
	v_fma_f64 v[6:7], v[8:9], v[0:1], v[6:7]
	v_fma_f64 v[2:3], v[0:1], v[10:11], -v[2:3]
	v_mul_f64 v[0:1], v[6:7], s[0:1]
	v_mul_f64 v[2:3], v[2:3], s[0:1]
	v_mov_b32_e32 v6, s3
	v_addc_co_u32_e32 v15, vcc, v5, v6, vcc
	global_store_dwordx4 v[14:15], v[0:3], off
	global_load_dwordx4 v[0:3], v[12:13], off offset:1184
	ds_read_b128 v[4:7], v176 offset:5280
	ds_read_b128 v[8:11], v176 offset:5808
	s_waitcnt vmcnt(0) lgkmcnt(1)
	v_mul_f64 v[16:17], v[6:7], v[2:3]
	v_mul_f64 v[2:3], v[4:5], v[2:3]
	v_fma_f64 v[4:5], v[4:5], v[0:1], v[16:17]
	v_fma_f64 v[2:3], v[0:1], v[6:7], -v[2:3]
	v_mul_f64 v[0:1], v[4:5], s[0:1]
	v_mul_f64 v[2:3], v[2:3], s[0:1]
	v_mov_b32_e32 v5, s3
	v_add_co_u32_e32 v4, vcc, s2, v14
	v_addc_co_u32_e32 v5, vcc, v15, v5, vcc
	v_add_co_u32_e32 v14, vcc, s2, v4
	global_store_dwordx4 v[4:5], v[0:3], off
	global_load_dwordx4 v[0:3], v[12:13], off offset:1712
	s_waitcnt vmcnt(0) lgkmcnt(0)
	v_mul_f64 v[6:7], v[10:11], v[2:3]
	v_mul_f64 v[2:3], v[8:9], v[2:3]
	v_fma_f64 v[6:7], v[8:9], v[0:1], v[6:7]
	v_fma_f64 v[2:3], v[0:1], v[10:11], -v[2:3]
	v_mul_f64 v[0:1], v[6:7], s[0:1]
	v_mul_f64 v[2:3], v[2:3], s[0:1]
	v_mov_b32_e32 v6, s3
	v_addc_co_u32_e32 v15, vcc, v5, v6, vcc
	;; [unrolled: 26-line block ×3, first 2 shown]
	global_store_dwordx4 v[14:15], v[0:3], off
	global_load_dwordx4 v[0:3], v[12:13], off offset:3296
	ds_read_b128 v[4:7], v176 offset:7392
	ds_read_b128 v[8:11], v176 offset:7920
	s_waitcnt vmcnt(0) lgkmcnt(1)
	v_mul_f64 v[16:17], v[6:7], v[2:3]
	v_mul_f64 v[2:3], v[4:5], v[2:3]
	v_fma_f64 v[4:5], v[4:5], v[0:1], v[16:17]
	v_fma_f64 v[2:3], v[0:1], v[6:7], -v[2:3]
	v_mul_f64 v[0:1], v[4:5], s[0:1]
	v_mul_f64 v[2:3], v[2:3], s[0:1]
	v_mov_b32_e32 v5, s3
	v_add_co_u32_e32 v4, vcc, s2, v14
	v_addc_co_u32_e32 v5, vcc, v15, v5, vcc
	global_store_dwordx4 v[4:5], v[0:3], off
	global_load_dwordx4 v[0:3], v[12:13], off offset:3824
	s_waitcnt vmcnt(0) lgkmcnt(0)
	v_mul_f64 v[6:7], v[10:11], v[2:3]
	v_mul_f64 v[2:3], v[8:9], v[2:3]
	v_fma_f64 v[6:7], v[8:9], v[0:1], v[6:7]
	v_fma_f64 v[2:3], v[0:1], v[10:11], -v[2:3]
	v_mov_b32_e32 v9, s3
	v_mul_f64 v[0:1], v[6:7], s[0:1]
	v_mul_f64 v[2:3], v[2:3], s[0:1]
	v_add_co_u32_e32 v6, vcc, s4, v18
	v_addc_co_u32_e32 v7, vcc, 0, v19, vcc
	v_add_co_u32_e32 v8, vcc, s2, v4
	v_addc_co_u32_e32 v9, vcc, v5, v9, vcc
	global_store_dwordx4 v[8:9], v[0:3], off
	global_load_dwordx4 v[0:3], v[6:7], off offset:256
	ds_read_b128 v[4:7], v176 offset:8448
	s_waitcnt vmcnt(0) lgkmcnt(0)
	v_mul_f64 v[10:11], v[6:7], v[2:3]
	v_mul_f64 v[2:3], v[4:5], v[2:3]
	v_fma_f64 v[4:5], v[4:5], v[0:1], v[10:11]
	v_fma_f64 v[2:3], v[0:1], v[6:7], -v[2:3]
	v_mul_f64 v[0:1], v[4:5], s[0:1]
	v_mul_f64 v[2:3], v[2:3], s[0:1]
	v_mov_b32_e32 v5, s3
	v_add_co_u32_e32 v4, vcc, s2, v8
	v_addc_co_u32_e32 v5, vcc, v9, v5, vcc
	global_store_dwordx4 v[4:5], v[0:3], off
.LBB0_23:
	s_endpgm
	.section	.rodata,"a",@progbits
	.p2align	6, 0x0
	.amdhsa_kernel bluestein_single_fwd_len561_dim1_dp_op_CI_CI
		.amdhsa_group_segment_fixed_size 44880
		.amdhsa_private_segment_fixed_size 704
		.amdhsa_kernarg_size 104
		.amdhsa_user_sgpr_count 6
		.amdhsa_user_sgpr_private_segment_buffer 1
		.amdhsa_user_sgpr_dispatch_ptr 0
		.amdhsa_user_sgpr_queue_ptr 0
		.amdhsa_user_sgpr_kernarg_segment_ptr 1
		.amdhsa_user_sgpr_dispatch_id 0
		.amdhsa_user_sgpr_flat_scratch_init 0
		.amdhsa_user_sgpr_private_segment_size 0
		.amdhsa_uses_dynamic_stack 0
		.amdhsa_system_sgpr_private_segment_wavefront_offset 1
		.amdhsa_system_sgpr_workgroup_id_x 1
		.amdhsa_system_sgpr_workgroup_id_y 0
		.amdhsa_system_sgpr_workgroup_id_z 0
		.amdhsa_system_sgpr_workgroup_info 0
		.amdhsa_system_vgpr_workitem_id 0
		.amdhsa_next_free_vgpr 256
		.amdhsa_next_free_sgpr 68
		.amdhsa_reserve_vcc 1
		.amdhsa_reserve_flat_scratch 0
		.amdhsa_float_round_mode_32 0
		.amdhsa_float_round_mode_16_64 0
		.amdhsa_float_denorm_mode_32 3
		.amdhsa_float_denorm_mode_16_64 3
		.amdhsa_dx10_clamp 1
		.amdhsa_ieee_mode 1
		.amdhsa_fp16_overflow 0
		.amdhsa_exception_fp_ieee_invalid_op 0
		.amdhsa_exception_fp_denorm_src 0
		.amdhsa_exception_fp_ieee_div_zero 0
		.amdhsa_exception_fp_ieee_overflow 0
		.amdhsa_exception_fp_ieee_underflow 0
		.amdhsa_exception_fp_ieee_inexact 0
		.amdhsa_exception_int_div_zero 0
	.end_amdhsa_kernel
	.text
.Lfunc_end0:
	.size	bluestein_single_fwd_len561_dim1_dp_op_CI_CI, .Lfunc_end0-bluestein_single_fwd_len561_dim1_dp_op_CI_CI
                                        ; -- End function
	.section	.AMDGPU.csdata,"",@progbits
; Kernel info:
; codeLenInByte = 32340
; NumSgprs: 72
; NumVgprs: 256
; ScratchSize: 704
; MemoryBound: 0
; FloatMode: 240
; IeeeMode: 1
; LDSByteSize: 44880 bytes/workgroup (compile time only)
; SGPRBlocks: 8
; VGPRBlocks: 63
; NumSGPRsForWavesPerEU: 72
; NumVGPRsForWavesPerEU: 256
; Occupancy: 1
; WaveLimiterHint : 1
; COMPUTE_PGM_RSRC2:SCRATCH_EN: 1
; COMPUTE_PGM_RSRC2:USER_SGPR: 6
; COMPUTE_PGM_RSRC2:TRAP_HANDLER: 0
; COMPUTE_PGM_RSRC2:TGID_X_EN: 1
; COMPUTE_PGM_RSRC2:TGID_Y_EN: 0
; COMPUTE_PGM_RSRC2:TGID_Z_EN: 0
; COMPUTE_PGM_RSRC2:TIDIG_COMP_CNT: 0
	.type	__hip_cuid_6b140181f35b5494,@object ; @__hip_cuid_6b140181f35b5494
	.section	.bss,"aw",@nobits
	.globl	__hip_cuid_6b140181f35b5494
__hip_cuid_6b140181f35b5494:
	.byte	0                               ; 0x0
	.size	__hip_cuid_6b140181f35b5494, 1

	.ident	"AMD clang version 19.0.0git (https://github.com/RadeonOpenCompute/llvm-project roc-6.4.0 25133 c7fe45cf4b819c5991fe208aaa96edf142730f1d)"
	.section	".note.GNU-stack","",@progbits
	.addrsig
	.addrsig_sym __hip_cuid_6b140181f35b5494
	.amdgpu_metadata
---
amdhsa.kernels:
  - .args:
      - .actual_access:  read_only
        .address_space:  global
        .offset:         0
        .size:           8
        .value_kind:     global_buffer
      - .actual_access:  read_only
        .address_space:  global
        .offset:         8
        .size:           8
        .value_kind:     global_buffer
      - .actual_access:  read_only
        .address_space:  global
        .offset:         16
        .size:           8
        .value_kind:     global_buffer
      - .actual_access:  read_only
        .address_space:  global
        .offset:         24
        .size:           8
        .value_kind:     global_buffer
      - .actual_access:  read_only
        .address_space:  global
        .offset:         32
        .size:           8
        .value_kind:     global_buffer
      - .offset:         40
        .size:           8
        .value_kind:     by_value
      - .address_space:  global
        .offset:         48
        .size:           8
        .value_kind:     global_buffer
      - .address_space:  global
        .offset:         56
        .size:           8
        .value_kind:     global_buffer
      - .address_space:  global
        .offset:         64
        .size:           8
        .value_kind:     global_buffer
      - .address_space:  global
        .offset:         72
        .size:           8
        .value_kind:     global_buffer
      - .offset:         80
        .size:           4
        .value_kind:     by_value
      - .address_space:  global
        .offset:         88
        .size:           8
        .value_kind:     global_buffer
      - .address_space:  global
        .offset:         96
        .size:           8
        .value_kind:     global_buffer
    .group_segment_fixed_size: 44880
    .kernarg_segment_align: 8
    .kernarg_segment_size: 104
    .language:       OpenCL C
    .language_version:
      - 2
      - 0
    .max_flat_workgroup_size: 255
    .name:           bluestein_single_fwd_len561_dim1_dp_op_CI_CI
    .private_segment_fixed_size: 704
    .sgpr_count:     72
    .sgpr_spill_count: 0
    .symbol:         bluestein_single_fwd_len561_dim1_dp_op_CI_CI.kd
    .uniform_work_group_size: 1
    .uses_dynamic_stack: false
    .vgpr_count:     256
    .vgpr_spill_count: 250
    .wavefront_size: 64
amdhsa.target:   amdgcn-amd-amdhsa--gfx906
amdhsa.version:
  - 1
  - 2
...

	.end_amdgpu_metadata
